;; amdgpu-corpus repo=ROCm/rocFFT kind=compiled arch=gfx1201 opt=O3
	.text
	.amdgcn_target "amdgcn-amd-amdhsa--gfx1201"
	.amdhsa_code_object_version 6
	.protected	fft_rtc_back_len1190_factors_17_2_5_7_wgs_255_tpt_85_halfLds_dp_op_CI_CI_unitstride_sbrr_C2R_dirReg ; -- Begin function fft_rtc_back_len1190_factors_17_2_5_7_wgs_255_tpt_85_halfLds_dp_op_CI_CI_unitstride_sbrr_C2R_dirReg
	.globl	fft_rtc_back_len1190_factors_17_2_5_7_wgs_255_tpt_85_halfLds_dp_op_CI_CI_unitstride_sbrr_C2R_dirReg
	.p2align	8
	.type	fft_rtc_back_len1190_factors_17_2_5_7_wgs_255_tpt_85_halfLds_dp_op_CI_CI_unitstride_sbrr_C2R_dirReg,@function
fft_rtc_back_len1190_factors_17_2_5_7_wgs_255_tpt_85_halfLds_dp_op_CI_CI_unitstride_sbrr_C2R_dirReg: ; @fft_rtc_back_len1190_factors_17_2_5_7_wgs_255_tpt_85_halfLds_dp_op_CI_CI_unitstride_sbrr_C2R_dirReg
; %bb.0:
	s_load_b128 s[8:11], s[0:1], 0x0
	v_mul_u32_u24_e32 v1, 0x304, v0
	s_clause 0x1
	s_load_b128 s[4:7], s[0:1], 0x58
	s_load_b128 s[12:15], s[0:1], 0x18
	v_mov_b32_e32 v5, 0
	v_lshrrev_b32_e32 v3, 16, v1
	v_mov_b32_e32 v1, 0
	v_mov_b32_e32 v2, 0
	s_delay_alu instid0(VALU_DEP_3) | instskip(NEXT) | instid1(VALU_DEP_2)
	v_mad_co_u64_u32 v[3:4], null, ttmp9, 3, v[3:4]
	v_dual_mov_b32 v4, v5 :: v_dual_mov_b32 v73, v2
	s_delay_alu instid0(VALU_DEP_1) | instskip(NEXT) | instid1(VALU_DEP_3)
	v_dual_mov_b32 v72, v1 :: v_dual_mov_b32 v77, v4
	v_mov_b32_e32 v76, v3
	s_wait_kmcnt 0x0
	v_cmp_lt_u64_e64 s2, s[10:11], 2
	s_delay_alu instid0(VALU_DEP_1)
	s_and_b32 vcc_lo, exec_lo, s2
	s_cbranch_vccnz .LBB0_8
; %bb.1:
	s_load_b64 s[2:3], s[0:1], 0x10
	v_dual_mov_b32 v1, 0 :: v_dual_mov_b32 v8, v4
	v_dual_mov_b32 v2, 0 :: v_dual_mov_b32 v7, v3
	s_add_nc_u64 s[16:17], s[14:15], 8
	s_add_nc_u64 s[18:19], s[12:13], 8
	s_mov_b64 s[20:21], 1
	s_delay_alu instid0(VALU_DEP_1)
	v_dual_mov_b32 v73, v2 :: v_dual_mov_b32 v72, v1
	s_wait_kmcnt 0x0
	s_add_nc_u64 s[22:23], s[2:3], 8
	s_mov_b32 s3, 0
.LBB0_2:                                ; =>This Inner Loop Header: Depth=1
	s_load_b64 s[24:25], s[22:23], 0x0
                                        ; implicit-def: $vgpr76_vgpr77
	s_mov_b32 s2, exec_lo
	s_wait_kmcnt 0x0
	v_or_b32_e32 v6, s25, v8
	s_delay_alu instid0(VALU_DEP_1)
	v_cmpx_ne_u64_e32 0, v[5:6]
	s_wait_alu 0xfffe
	s_xor_b32 s26, exec_lo, s2
	s_cbranch_execz .LBB0_4
; %bb.3:                                ;   in Loop: Header=BB0_2 Depth=1
	s_cvt_f32_u32 s2, s24
	s_cvt_f32_u32 s27, s25
	s_sub_nc_u64 s[30:31], 0, s[24:25]
	s_wait_alu 0xfffe
	s_delay_alu instid0(SALU_CYCLE_1) | instskip(SKIP_1) | instid1(SALU_CYCLE_2)
	s_fmamk_f32 s2, s27, 0x4f800000, s2
	s_wait_alu 0xfffe
	v_s_rcp_f32 s2, s2
	s_delay_alu instid0(TRANS32_DEP_1) | instskip(SKIP_1) | instid1(SALU_CYCLE_2)
	s_mul_f32 s2, s2, 0x5f7ffffc
	s_wait_alu 0xfffe
	s_mul_f32 s27, s2, 0x2f800000
	s_wait_alu 0xfffe
	s_delay_alu instid0(SALU_CYCLE_2) | instskip(SKIP_1) | instid1(SALU_CYCLE_2)
	s_trunc_f32 s27, s27
	s_wait_alu 0xfffe
	s_fmamk_f32 s2, s27, 0xcf800000, s2
	s_cvt_u32_f32 s29, s27
	s_wait_alu 0xfffe
	s_delay_alu instid0(SALU_CYCLE_1) | instskip(SKIP_1) | instid1(SALU_CYCLE_2)
	s_cvt_u32_f32 s28, s2
	s_wait_alu 0xfffe
	s_mul_u64 s[34:35], s[30:31], s[28:29]
	s_wait_alu 0xfffe
	s_mul_hi_u32 s37, s28, s35
	s_mul_i32 s36, s28, s35
	s_mul_hi_u32 s2, s28, s34
	s_mul_i32 s33, s29, s34
	s_wait_alu 0xfffe
	s_add_nc_u64 s[36:37], s[2:3], s[36:37]
	s_mul_hi_u32 s27, s29, s34
	s_mul_hi_u32 s38, s29, s35
	s_add_co_u32 s2, s36, s33
	s_wait_alu 0xfffe
	s_add_co_ci_u32 s2, s37, s27
	s_mul_i32 s34, s29, s35
	s_add_co_ci_u32 s35, s38, 0
	s_wait_alu 0xfffe
	s_add_nc_u64 s[34:35], s[2:3], s[34:35]
	s_wait_alu 0xfffe
	v_add_co_u32 v4, s2, s28, s34
	s_delay_alu instid0(VALU_DEP_1) | instskip(SKIP_1) | instid1(VALU_DEP_1)
	s_cmp_lg_u32 s2, 0
	s_add_co_ci_u32 s29, s29, s35
	v_readfirstlane_b32 s28, v4
	s_wait_alu 0xfffe
	s_delay_alu instid0(VALU_DEP_1)
	s_mul_u64 s[30:31], s[30:31], s[28:29]
	s_wait_alu 0xfffe
	s_mul_hi_u32 s35, s28, s31
	s_mul_i32 s34, s28, s31
	s_mul_hi_u32 s2, s28, s30
	s_mul_i32 s33, s29, s30
	s_wait_alu 0xfffe
	s_add_nc_u64 s[34:35], s[2:3], s[34:35]
	s_mul_hi_u32 s27, s29, s30
	s_mul_hi_u32 s28, s29, s31
	s_wait_alu 0xfffe
	s_add_co_u32 s2, s34, s33
	s_add_co_ci_u32 s2, s35, s27
	s_mul_i32 s30, s29, s31
	s_add_co_ci_u32 s31, s28, 0
	s_wait_alu 0xfffe
	s_add_nc_u64 s[30:31], s[2:3], s[30:31]
	s_wait_alu 0xfffe
	v_add_co_u32 v4, s2, v4, s30
	s_delay_alu instid0(VALU_DEP_1) | instskip(SKIP_1) | instid1(VALU_DEP_1)
	s_cmp_lg_u32 s2, 0
	s_add_co_ci_u32 s2, s29, s31
	v_mul_hi_u32 v6, v7, v4
	s_wait_alu 0xfffe
	v_mad_co_u64_u32 v[9:10], null, v7, s2, 0
	v_mad_co_u64_u32 v[11:12], null, v8, v4, 0
	;; [unrolled: 1-line block ×3, first 2 shown]
	s_delay_alu instid0(VALU_DEP_3) | instskip(SKIP_1) | instid1(VALU_DEP_4)
	v_add_co_u32 v4, vcc_lo, v6, v9
	s_wait_alu 0xfffd
	v_add_co_ci_u32_e32 v6, vcc_lo, 0, v10, vcc_lo
	s_delay_alu instid0(VALU_DEP_2) | instskip(SKIP_1) | instid1(VALU_DEP_2)
	v_add_co_u32 v4, vcc_lo, v4, v11
	s_wait_alu 0xfffd
	v_add_co_ci_u32_e32 v4, vcc_lo, v6, v12, vcc_lo
	s_wait_alu 0xfffd
	v_add_co_ci_u32_e32 v6, vcc_lo, 0, v14, vcc_lo
	s_delay_alu instid0(VALU_DEP_2) | instskip(SKIP_1) | instid1(VALU_DEP_2)
	v_add_co_u32 v4, vcc_lo, v4, v13
	s_wait_alu 0xfffd
	v_add_co_ci_u32_e32 v6, vcc_lo, 0, v6, vcc_lo
	s_delay_alu instid0(VALU_DEP_2) | instskip(SKIP_1) | instid1(VALU_DEP_3)
	v_mul_lo_u32 v11, s25, v4
	v_mad_co_u64_u32 v[9:10], null, s24, v4, 0
	v_mul_lo_u32 v12, s24, v6
	s_delay_alu instid0(VALU_DEP_2) | instskip(NEXT) | instid1(VALU_DEP_2)
	v_sub_co_u32 v9, vcc_lo, v7, v9
	v_add3_u32 v10, v10, v12, v11
	s_delay_alu instid0(VALU_DEP_1) | instskip(SKIP_1) | instid1(VALU_DEP_1)
	v_sub_nc_u32_e32 v11, v8, v10
	s_wait_alu 0xfffd
	v_subrev_co_ci_u32_e64 v11, s2, s25, v11, vcc_lo
	v_add_co_u32 v12, s2, v4, 2
	s_wait_alu 0xf1ff
	v_add_co_ci_u32_e64 v13, s2, 0, v6, s2
	v_sub_co_u32 v14, s2, v9, s24
	v_sub_co_ci_u32_e32 v10, vcc_lo, v8, v10, vcc_lo
	s_wait_alu 0xf1ff
	v_subrev_co_ci_u32_e64 v11, s2, 0, v11, s2
	s_delay_alu instid0(VALU_DEP_3) | instskip(NEXT) | instid1(VALU_DEP_3)
	v_cmp_le_u32_e32 vcc_lo, s24, v14
	v_cmp_eq_u32_e64 s2, s25, v10
	s_wait_alu 0xfffd
	v_cndmask_b32_e64 v14, 0, -1, vcc_lo
	v_cmp_le_u32_e32 vcc_lo, s25, v11
	s_wait_alu 0xfffd
	v_cndmask_b32_e64 v15, 0, -1, vcc_lo
	v_cmp_le_u32_e32 vcc_lo, s24, v9
	;; [unrolled: 3-line block ×3, first 2 shown]
	s_wait_alu 0xfffd
	v_cndmask_b32_e64 v16, 0, -1, vcc_lo
	v_cmp_eq_u32_e32 vcc_lo, s25, v11
	s_wait_alu 0xf1ff
	s_delay_alu instid0(VALU_DEP_2)
	v_cndmask_b32_e64 v9, v16, v9, s2
	s_wait_alu 0xfffd
	v_cndmask_b32_e32 v11, v15, v14, vcc_lo
	v_add_co_u32 v14, vcc_lo, v4, 1
	s_wait_alu 0xfffd
	v_add_co_ci_u32_e32 v15, vcc_lo, 0, v6, vcc_lo
	s_delay_alu instid0(VALU_DEP_3) | instskip(SKIP_1) | instid1(VALU_DEP_2)
	v_cmp_ne_u32_e32 vcc_lo, 0, v11
	s_wait_alu 0xfffd
	v_dual_cndmask_b32 v10, v15, v13 :: v_dual_cndmask_b32 v11, v14, v12
	v_cmp_ne_u32_e32 vcc_lo, 0, v9
	s_wait_alu 0xfffd
	s_delay_alu instid0(VALU_DEP_2)
	v_dual_cndmask_b32 v77, v6, v10 :: v_dual_cndmask_b32 v76, v4, v11
.LBB0_4:                                ;   in Loop: Header=BB0_2 Depth=1
	s_wait_alu 0xfffe
	s_and_not1_saveexec_b32 s2, s26
	s_cbranch_execz .LBB0_6
; %bb.5:                                ;   in Loop: Header=BB0_2 Depth=1
	v_cvt_f32_u32_e32 v4, s24
	s_sub_co_i32 s26, 0, s24
	v_mov_b32_e32 v77, v5
	s_delay_alu instid0(VALU_DEP_2) | instskip(NEXT) | instid1(TRANS32_DEP_1)
	v_rcp_iflag_f32_e32 v4, v4
	v_mul_f32_e32 v4, 0x4f7ffffe, v4
	s_delay_alu instid0(VALU_DEP_1) | instskip(SKIP_1) | instid1(VALU_DEP_1)
	v_cvt_u32_f32_e32 v4, v4
	s_wait_alu 0xfffe
	v_mul_lo_u32 v6, s26, v4
	s_delay_alu instid0(VALU_DEP_1) | instskip(NEXT) | instid1(VALU_DEP_1)
	v_mul_hi_u32 v6, v4, v6
	v_add_nc_u32_e32 v4, v4, v6
	s_delay_alu instid0(VALU_DEP_1) | instskip(NEXT) | instid1(VALU_DEP_1)
	v_mul_hi_u32 v4, v7, v4
	v_mul_lo_u32 v6, v4, s24
	s_delay_alu instid0(VALU_DEP_1) | instskip(NEXT) | instid1(VALU_DEP_1)
	v_sub_nc_u32_e32 v6, v7, v6
	v_subrev_nc_u32_e32 v10, s24, v6
	v_cmp_le_u32_e32 vcc_lo, s24, v6
	s_wait_alu 0xfffd
	s_delay_alu instid0(VALU_DEP_2) | instskip(NEXT) | instid1(VALU_DEP_1)
	v_dual_cndmask_b32 v6, v6, v10 :: v_dual_add_nc_u32 v9, 1, v4
	v_cndmask_b32_e32 v4, v4, v9, vcc_lo
	s_delay_alu instid0(VALU_DEP_2) | instskip(NEXT) | instid1(VALU_DEP_2)
	v_cmp_le_u32_e32 vcc_lo, s24, v6
	v_add_nc_u32_e32 v9, 1, v4
	s_wait_alu 0xfffd
	s_delay_alu instid0(VALU_DEP_1)
	v_cndmask_b32_e32 v76, v4, v9, vcc_lo
.LBB0_6:                                ;   in Loop: Header=BB0_2 Depth=1
	s_wait_alu 0xfffe
	s_or_b32 exec_lo, exec_lo, s2
	v_mul_lo_u32 v4, v77, s24
	s_delay_alu instid0(VALU_DEP_2)
	v_mul_lo_u32 v6, v76, s25
	s_load_b64 s[26:27], s[18:19], 0x0
	v_mad_co_u64_u32 v[9:10], null, v76, s24, 0
	s_load_b64 s[24:25], s[16:17], 0x0
	s_add_nc_u64 s[20:21], s[20:21], 1
	s_add_nc_u64 s[16:17], s[16:17], 8
	s_wait_alu 0xfffe
	v_cmp_ge_u64_e64 s2, s[20:21], s[10:11]
	s_add_nc_u64 s[18:19], s[18:19], 8
	s_add_nc_u64 s[22:23], s[22:23], 8
	v_add3_u32 v4, v10, v6, v4
	v_sub_co_u32 v6, vcc_lo, v7, v9
	s_wait_alu 0xfffd
	s_delay_alu instid0(VALU_DEP_2) | instskip(SKIP_2) | instid1(VALU_DEP_1)
	v_sub_co_ci_u32_e32 v4, vcc_lo, v8, v4, vcc_lo
	s_and_b32 vcc_lo, exec_lo, s2
	s_wait_kmcnt 0x0
	v_mul_lo_u32 v7, s26, v4
	v_mul_lo_u32 v8, s27, v6
	v_mad_co_u64_u32 v[1:2], null, s26, v6, v[1:2]
	v_mul_lo_u32 v4, s24, v4
	v_mul_lo_u32 v9, s25, v6
	v_mad_co_u64_u32 v[72:73], null, s24, v6, v[72:73]
	s_delay_alu instid0(VALU_DEP_4) | instskip(NEXT) | instid1(VALU_DEP_2)
	v_add3_u32 v2, v8, v2, v7
	v_add3_u32 v73, v9, v73, v4
	s_wait_alu 0xfffe
	s_cbranch_vccnz .LBB0_8
; %bb.7:                                ;   in Loop: Header=BB0_2 Depth=1
	v_dual_mov_b32 v7, v76 :: v_dual_mov_b32 v8, v77
	s_branch .LBB0_2
.LBB0_8:
	s_load_b64 s[0:1], s[0:1], 0x28
	v_mul_hi_u32 v4, 0xaaaaaaab, v3
	s_lshl_b64 s[10:11], s[10:11], 3
                                        ; implicit-def: $vgpr74
	s_wait_alu 0xfffe
	s_add_nc_u64 s[2:3], s[14:15], s[10:11]
	s_delay_alu instid0(VALU_DEP_1) | instskip(NEXT) | instid1(VALU_DEP_1)
	v_lshrrev_b32_e32 v4, 1, v4
	v_lshl_add_u32 v5, v4, 1, v4
	v_mul_hi_u32 v4, 0x3030304, v0
	s_delay_alu instid0(VALU_DEP_2) | instskip(SKIP_3) | instid1(VALU_DEP_1)
	v_sub_nc_u32_e32 v3, v3, v5
	s_wait_kmcnt 0x0
	v_cmp_gt_u64_e32 vcc_lo, s[0:1], v[76:77]
	v_cmp_le_u64_e64 s0, s[0:1], v[76:77]
	s_and_saveexec_b32 s1, s0
	s_wait_alu 0xfffe
	s_xor_b32 s0, exec_lo, s1
; %bb.9:
	v_mul_u32_u24_e32 v1, 0x55, v4
                                        ; implicit-def: $vgpr4
	s_delay_alu instid0(VALU_DEP_1)
	v_sub_nc_u32_e32 v74, v0, v1
                                        ; implicit-def: $vgpr0
                                        ; implicit-def: $vgpr1_vgpr2
; %bb.10:
	s_wait_alu 0xfffe
	s_or_saveexec_b32 s1, s0
	s_load_b64 s[2:3], s[2:3], 0x0
	v_mul_u32_u24_e32 v10, 0x4a7, v3
	s_delay_alu instid0(VALU_DEP_1)
	v_lshlrev_b32_e32 v176, 4, v10
	s_xor_b32 exec_lo, exec_lo, s1
	s_cbranch_execz .LBB0_14
; %bb.11:
	s_add_nc_u64 s[10:11], s[12:13], s[10:11]
	v_lshlrev_b64_e32 v[1:2], 4, v[1:2]
	s_load_b64 s[10:11], s[10:11], 0x0
	s_wait_kmcnt 0x0
	v_mul_lo_u32 v3, s11, v76
	v_mul_lo_u32 v7, s10, v77
	v_mad_co_u64_u32 v[5:6], null, s10, v76, 0
	s_delay_alu instid0(VALU_DEP_1) | instskip(SKIP_1) | instid1(VALU_DEP_2)
	v_add3_u32 v6, v6, v7, v3
	v_mul_u32_u24_e32 v7, 0x55, v4
	v_lshlrev_b64_e32 v[3:4], 4, v[5:6]
	s_delay_alu instid0(VALU_DEP_2) | instskip(NEXT) | instid1(VALU_DEP_1)
	v_sub_nc_u32_e32 v74, v0, v7
	v_lshlrev_b32_e32 v9, 4, v74
	s_delay_alu instid0(VALU_DEP_3) | instskip(SKIP_1) | instid1(VALU_DEP_4)
	v_add_co_u32 v0, s0, s4, v3
	s_wait_alu 0xf1ff
	v_add_co_ci_u32_e64 v3, s0, s5, v4, s0
	s_mov_b32 s4, exec_lo
	s_delay_alu instid0(VALU_DEP_2) | instskip(SKIP_1) | instid1(VALU_DEP_2)
	v_add_co_u32 v0, s0, v0, v1
	s_wait_alu 0xf1ff
	v_add_co_ci_u32_e64 v1, s0, v3, v2, s0
	v_add3_u32 v2, 0, v176, v9
	s_delay_alu instid0(VALU_DEP_3) | instskip(SKIP_1) | instid1(VALU_DEP_3)
	v_add_co_u32 v7, s0, v0, v9
	s_wait_alu 0xf1ff
	v_add_co_ci_u32_e64 v8, s0, 0, v1, s0
	s_clause 0xd
	global_load_b128 v[3:6], v[7:8], off
	global_load_b128 v[11:14], v[7:8], off offset:1360
	global_load_b128 v[15:18], v[7:8], off offset:2720
	;; [unrolled: 1-line block ×13, first 2 shown]
	s_wait_loadcnt 0xd
	ds_store_b128 v2, v[3:6]
	s_wait_loadcnt 0xc
	ds_store_b128 v2, v[11:14] offset:1360
	s_wait_loadcnt 0xb
	ds_store_b128 v2, v[15:18] offset:2720
	;; [unrolled: 2-line block ×13, first 2 shown]
	v_cmpx_eq_u32_e32 0x54, v74
	s_cbranch_execz .LBB0_13
; %bb.12:
	global_load_b128 v[3:6], v[0:1], off offset:19040
	v_mov_b32_e32 v74, 0x54
	s_wait_loadcnt 0x0
	ds_store_b128 v2, v[3:6] offset:17696
.LBB0_13:
	s_wait_alu 0xfffe
	s_or_b32 exec_lo, exec_lo, s4
.LBB0_14:
	s_delay_alu instid0(SALU_CYCLE_1)
	s_or_b32 exec_lo, exec_lo, s1
	v_lshl_add_u32 v174, v10, 4, 0
	v_lshlrev_b32_e32 v0, 4, v74
	global_wb scope:SCOPE_SE
	s_wait_dscnt 0x0
	s_wait_kmcnt 0x0
	s_barrier_signal -1
	s_barrier_wait -1
	global_inv scope:SCOPE_SE
	v_add_nc_u32_e32 v175, v174, v0
	v_sub_nc_u32_e32 v11, v174, v0
	s_mov_b32 s1, exec_lo
                                        ; implicit-def: $vgpr4_vgpr5
	ds_load_b64 v[6:7], v175
	ds_load_b64 v[8:9], v11 offset:19040
	s_wait_dscnt 0x0
	v_add_f64_e32 v[0:1], v[6:7], v[8:9]
	v_add_f64_e64 v[2:3], v[6:7], -v[8:9]
	v_cmpx_ne_u32_e32 0, v74
	s_wait_alu 0xfffe
	s_xor_b32 s1, exec_lo, s1
	s_cbranch_execz .LBB0_16
; %bb.15:
	v_mov_b32_e32 v75, 0
	v_add_f64_e32 v[14:15], v[6:7], v[8:9]
	v_add_f64_e64 v[16:17], v[6:7], -v[8:9]
	s_delay_alu instid0(VALU_DEP_3) | instskip(NEXT) | instid1(VALU_DEP_1)
	v_lshlrev_b64_e32 v[0:1], 4, v[74:75]
	v_add_co_u32 v0, s0, s8, v0
	s_wait_alu 0xf1ff
	s_delay_alu instid0(VALU_DEP_2)
	v_add_co_ci_u32_e64 v1, s0, s9, v1, s0
	global_load_b128 v[2:5], v[0:1], off offset:18768
	ds_load_b64 v[0:1], v11 offset:19048
	ds_load_b64 v[12:13], v175 offset:8
	s_wait_dscnt 0x0
	v_add_f64_e32 v[6:7], v[0:1], v[12:13]
	v_add_f64_e64 v[0:1], v[12:13], -v[0:1]
	s_wait_loadcnt 0x0
	v_fma_f64 v[8:9], v[16:17], v[4:5], v[14:15]
	v_fma_f64 v[12:13], -v[16:17], v[4:5], v[14:15]
	s_delay_alu instid0(VALU_DEP_3) | instskip(SKIP_1) | instid1(VALU_DEP_4)
	v_fma_f64 v[14:15], v[6:7], v[4:5], -v[0:1]
	v_fma_f64 v[4:5], v[6:7], v[4:5], v[0:1]
	v_fma_f64 v[0:1], -v[6:7], v[2:3], v[8:9]
	s_delay_alu instid0(VALU_DEP_4) | instskip(NEXT) | instid1(VALU_DEP_4)
	v_fma_f64 v[6:7], v[6:7], v[2:3], v[12:13]
	v_fma_f64 v[8:9], v[16:17], v[2:3], v[14:15]
	s_delay_alu instid0(VALU_DEP_4)
	v_fma_f64 v[2:3], v[16:17], v[2:3], v[4:5]
	v_dual_mov_b32 v4, v74 :: v_dual_mov_b32 v5, v75
	ds_store_b128 v11, v[6:9] offset:19040
.LBB0_16:
	s_wait_alu 0xfffe
	s_and_not1_saveexec_b32 s0, s1
	s_cbranch_execz .LBB0_18
; %bb.17:
	ds_load_b128 v[4:7], v174 offset:9520
	s_wait_dscnt 0x0
	v_add_f64_e32 v[12:13], v[4:5], v[4:5]
	v_mul_f64_e32 v[14:15], -2.0, v[6:7]
	v_mov_b32_e32 v4, 0
	v_mov_b32_e32 v5, 0
	ds_store_b128 v174, v[12:15] offset:9520
.LBB0_18:
	s_wait_alu 0xfffe
	s_or_b32 exec_lo, exec_lo, s0
	v_lshlrev_b64_e32 v[4:5], 4, v[4:5]
	s_add_nc_u64 s[0:1], s[8:9], 0x4950
	s_mov_b32 s18, 0x7c9e640b
	s_mov_b32 s10, 0x2b2883cd
	s_mov_b32 s19, 0xbfeca52d
	s_mov_b32 s11, 0x3fdc86fa
	s_wait_alu 0xfffe
	v_add_co_u32 v24, s0, s0, v4
	s_wait_alu 0xf1ff
	v_add_co_ci_u32_e64 v25, s0, s1, v5, s0
	s_mov_b32 s16, 0x6c9a05f6
	s_mov_b32 s4, 0x6ed5f1bb
	;; [unrolled: 1-line block ×3, first 2 shown]
	s_clause 0x1
	global_load_b128 v[4:7], v[24:25], off offset:1360
	global_load_b128 v[12:15], v[24:25], off offset:2720
	ds_store_b128 v175, v[0:3]
	ds_load_b128 v[0:3], v175 offset:1360
	ds_load_b128 v[16:19], v11 offset:17680
	global_load_b128 v[20:23], v[24:25], off offset:4080
	s_mov_b32 s5, 0xbfe348c8
	s_mov_b32 s12, 0x7faef3
	;; [unrolled: 1-line block ×18, first 2 shown]
	s_wait_dscnt 0x0
	v_add_f64_e32 v[8:9], v[0:1], v[16:17]
	v_add_f64_e32 v[26:27], v[18:19], v[2:3]
	v_add_f64_e64 v[16:17], v[0:1], -v[16:17]
	v_add_f64_e64 v[0:1], v[2:3], -v[18:19]
	s_mov_b32 s38, 0xeb564b22
	s_mov_b32 s27, 0x3fb79ee6
	;; [unrolled: 1-line block ×7, first 2 shown]
	s_mov_b32 s33, exec_lo
	s_wait_loadcnt 0x2
	s_delay_alu instid0(VALU_DEP_2) | instskip(NEXT) | instid1(VALU_DEP_2)
	v_fma_f64 v[2:3], v[16:17], v[6:7], v[8:9]
	v_fma_f64 v[18:19], v[26:27], v[6:7], v[0:1]
	v_fma_f64 v[8:9], -v[16:17], v[6:7], v[8:9]
	v_fma_f64 v[28:29], v[26:27], v[6:7], -v[0:1]
	s_delay_alu instid0(VALU_DEP_4) | instskip(NEXT) | instid1(VALU_DEP_4)
	v_fma_f64 v[0:1], -v[26:27], v[4:5], v[2:3]
	v_fma_f64 v[2:3], v[16:17], v[4:5], v[18:19]
	s_delay_alu instid0(VALU_DEP_4) | instskip(NEXT) | instid1(VALU_DEP_4)
	v_fma_f64 v[6:7], v[26:27], v[4:5], v[8:9]
	v_fma_f64 v[8:9], v[16:17], v[4:5], v[28:29]
	ds_store_b128 v175, v[0:3] offset:1360
	ds_store_b128 v11, v[6:9] offset:17680
	ds_load_b128 v[0:3], v175 offset:2720
	ds_load_b128 v[4:7], v11 offset:16320
	global_load_b128 v[16:19], v[24:25], off offset:5440
	s_wait_dscnt 0x0
	v_add_f64_e32 v[8:9], v[0:1], v[4:5]
	v_add_f64_e32 v[26:27], v[6:7], v[2:3]
	v_add_f64_e64 v[28:29], v[0:1], -v[4:5]
	v_add_f64_e64 v[0:1], v[2:3], -v[6:7]
	s_wait_loadcnt 0x2
	s_delay_alu instid0(VALU_DEP_2) | instskip(NEXT) | instid1(VALU_DEP_2)
	v_fma_f64 v[2:3], v[28:29], v[14:15], v[8:9]
	v_fma_f64 v[4:5], v[26:27], v[14:15], v[0:1]
	v_fma_f64 v[6:7], -v[28:29], v[14:15], v[8:9]
	v_fma_f64 v[8:9], v[26:27], v[14:15], -v[0:1]
	s_delay_alu instid0(VALU_DEP_4) | instskip(NEXT) | instid1(VALU_DEP_4)
	v_fma_f64 v[0:1], -v[26:27], v[12:13], v[2:3]
	v_fma_f64 v[2:3], v[28:29], v[12:13], v[4:5]
	s_delay_alu instid0(VALU_DEP_4) | instskip(NEXT) | instid1(VALU_DEP_4)
	v_fma_f64 v[4:5], v[26:27], v[12:13], v[6:7]
	v_fma_f64 v[6:7], v[28:29], v[12:13], v[8:9]
	ds_store_b128 v175, v[0:3] offset:2720
	ds_store_b128 v11, v[4:7] offset:16320
	ds_load_b128 v[0:3], v175 offset:4080
	ds_load_b128 v[4:7], v11 offset:14960
	global_load_b128 v[12:15], v[24:25], off offset:6800
	s_wait_dscnt 0x0
	v_add_f64_e32 v[8:9], v[0:1], v[4:5]
	v_add_f64_e32 v[26:27], v[6:7], v[2:3]
	v_add_f64_e64 v[28:29], v[0:1], -v[4:5]
	v_add_f64_e64 v[0:1], v[2:3], -v[6:7]
	;; [unrolled: 22-line block ×3, first 2 shown]
	s_wait_loadcnt 0x2
	s_delay_alu instid0(VALU_DEP_2) | instskip(NEXT) | instid1(VALU_DEP_2)
	v_fma_f64 v[2:3], v[26:27], v[18:19], v[8:9]
	v_fma_f64 v[4:5], v[24:25], v[18:19], v[0:1]
	v_fma_f64 v[6:7], -v[26:27], v[18:19], v[8:9]
	v_fma_f64 v[8:9], v[24:25], v[18:19], -v[0:1]
	s_delay_alu instid0(VALU_DEP_4) | instskip(NEXT) | instid1(VALU_DEP_4)
	v_fma_f64 v[0:1], -v[24:25], v[16:17], v[2:3]
	v_fma_f64 v[2:3], v[26:27], v[16:17], v[4:5]
	s_delay_alu instid0(VALU_DEP_4) | instskip(NEXT) | instid1(VALU_DEP_4)
	v_fma_f64 v[4:5], v[24:25], v[16:17], v[6:7]
	v_fma_f64 v[6:7], v[26:27], v[16:17], v[8:9]
	ds_store_b128 v175, v[0:3] offset:5440
	ds_store_b128 v11, v[4:7] offset:13600
	ds_load_b128 v[0:3], v175 offset:6800
	ds_load_b128 v[4:7], v11 offset:12240
	s_wait_dscnt 0x0
	v_add_f64_e32 v[8:9], v[0:1], v[4:5]
	v_add_f64_e32 v[16:17], v[6:7], v[2:3]
	v_add_f64_e64 v[18:19], v[0:1], -v[4:5]
	v_add_f64_e64 v[0:1], v[2:3], -v[6:7]
	s_wait_loadcnt 0x1
	s_delay_alu instid0(VALU_DEP_2) | instskip(NEXT) | instid1(VALU_DEP_2)
	v_fma_f64 v[2:3], v[18:19], v[14:15], v[8:9]
	v_fma_f64 v[4:5], v[16:17], v[14:15], v[0:1]
	v_fma_f64 v[6:7], -v[18:19], v[14:15], v[8:9]
	v_fma_f64 v[8:9], v[16:17], v[14:15], -v[0:1]
	s_delay_alu instid0(VALU_DEP_4) | instskip(NEXT) | instid1(VALU_DEP_4)
	v_fma_f64 v[0:1], -v[16:17], v[12:13], v[2:3]
	v_fma_f64 v[2:3], v[18:19], v[12:13], v[4:5]
	s_delay_alu instid0(VALU_DEP_4) | instskip(NEXT) | instid1(VALU_DEP_4)
	v_fma_f64 v[4:5], v[16:17], v[12:13], v[6:7]
	v_fma_f64 v[6:7], v[18:19], v[12:13], v[8:9]
	ds_store_b128 v175, v[0:3] offset:6800
	ds_store_b128 v11, v[4:7] offset:12240
	ds_load_b128 v[0:3], v175 offset:8160
	ds_load_b128 v[4:7], v11 offset:10880
	s_wait_dscnt 0x0
	v_add_f64_e32 v[8:9], v[0:1], v[4:5]
	v_add_f64_e32 v[12:13], v[6:7], v[2:3]
	v_add_f64_e64 v[14:15], v[0:1], -v[4:5]
	v_add_f64_e64 v[0:1], v[2:3], -v[6:7]
	s_wait_loadcnt 0x0
	s_delay_alu instid0(VALU_DEP_2) | instskip(NEXT) | instid1(VALU_DEP_2)
	v_fma_f64 v[2:3], v[14:15], v[22:23], v[8:9]
	v_fma_f64 v[4:5], v[12:13], v[22:23], v[0:1]
	v_fma_f64 v[6:7], -v[14:15], v[22:23], v[8:9]
	v_fma_f64 v[8:9], v[12:13], v[22:23], -v[0:1]
	s_delay_alu instid0(VALU_DEP_4) | instskip(NEXT) | instid1(VALU_DEP_4)
	v_fma_f64 v[0:1], -v[12:13], v[20:21], v[2:3]
	v_fma_f64 v[2:3], v[14:15], v[20:21], v[4:5]
	s_delay_alu instid0(VALU_DEP_4) | instskip(NEXT) | instid1(VALU_DEP_4)
	v_fma_f64 v[4:5], v[12:13], v[20:21], v[6:7]
	v_fma_f64 v[6:7], v[14:15], v[20:21], v[8:9]
	v_lshl_add_u32 v8, v74, 4, 0
	ds_store_b128 v175, v[0:3] offset:8160
	ds_store_b128 v11, v[4:7] offset:10880
	v_lshl_add_u32 v75, v10, 4, v8
	global_wb scope:SCOPE_SE
	s_wait_dscnt 0x0
	s_barrier_signal -1
	s_barrier_wait -1
	global_inv scope:SCOPE_SE
	global_wb scope:SCOPE_SE
	s_barrier_signal -1
	s_barrier_wait -1
	global_inv scope:SCOPE_SE
	ds_load_b128 v[8:11], v75 offset:17920
	ds_load_b128 v[32:35], v75 offset:1120
	ds_load_b128 v[4:7], v175
	ds_load_b128 v[12:15], v75 offset:16800
	ds_load_b128 v[40:43], v75 offset:2240
	ds_load_b128 v[44:47], v75 offset:3360
	ds_load_b128 v[16:19], v75 offset:15680
	ds_load_b128 v[20:23], v75 offset:14560
	ds_load_b128 v[48:51], v75 offset:4480
	ds_load_b128 v[52:55], v75 offset:5600
	ds_load_b128 v[24:27], v75 offset:13440
	s_wait_dscnt 0x9
	v_add_f64_e64 v[152:153], v[34:35], -v[10:11]
	v_add_f64_e32 v[154:155], v[34:35], v[10:11]
	v_add_f64_e32 v[148:149], v[32:33], v[8:9]
	s_wait_dscnt 0x6
	v_add_f64_e64 v[92:93], v[42:43], -v[14:15]
	v_add_f64_e64 v[160:161], v[32:33], -v[8:9]
	v_add_f64_e32 v[78:79], v[42:43], v[14:15]
	v_add_f64_e32 v[80:81], v[40:41], v[12:13]
	s_wait_dscnt 0x4
	v_add_f64_e64 v[94:95], v[46:47], -v[18:19]
	v_add_f64_e64 v[96:97], v[40:41], -v[12:13]
	v_add_f64_e32 v[82:83], v[46:47], v[18:19]
	v_add_f64_e32 v[84:85], v[44:45], v[16:17]
	v_add_f64_e64 v[114:115], v[44:45], -v[16:17]
	s_wait_dscnt 0x2
	v_add_f64_e64 v[108:109], v[50:51], -v[22:23]
	v_add_f64_e32 v[86:87], v[50:51], v[22:23]
	v_add_f64_e32 v[88:89], v[48:49], v[20:21]
	v_add_f64_e64 v[118:119], v[48:49], -v[20:21]
	s_wait_dscnt 0x0
	v_add_f64_e64 v[110:111], v[54:55], -v[26:27]
	v_add_f64_e32 v[90:91], v[54:55], v[26:27]
	v_add_f64_e32 v[98:99], v[52:53], v[24:25]
	v_add_f64_e64 v[124:125], v[52:53], -v[24:25]
	v_mul_f64_e32 v[166:167], s[18:19], v[152:153]
	v_mul_f64_e32 v[172:173], s[10:11], v[154:155]
	;; [unrolled: 1-line block ×3, first 2 shown]
	s_wait_alu 0xfffe
	v_mul_f64_e32 v[136:137], s[4:5], v[78:79]
	v_mul_f64_e32 v[138:139], s[22:23], v[94:95]
	;; [unrolled: 1-line block ×7, first 2 shown]
	v_fma_f64 v[0:1], v[148:149], s[10:11], -v[166:167]
	v_fma_f64 v[2:3], v[160:161], s[18:19], v[172:173]
	v_fma_f64 v[28:29], v[80:81], s[4:5], -v[134:135]
	v_fma_f64 v[30:31], v[96:97], s[16:17], v[136:137]
	;; [unrolled: 2-line block ×5, first 2 shown]
	v_add_f64_e32 v[0:1], v[4:5], v[0:1]
	v_add_f64_e32 v[2:3], v[6:7], v[2:3]
	s_delay_alu instid0(VALU_DEP_2) | instskip(NEXT) | instid1(VALU_DEP_2)
	v_add_f64_e32 v[0:1], v[28:29], v[0:1]
	v_add_f64_e32 v[2:3], v[30:31], v[2:3]
	ds_load_b128 v[28:31], v75 offset:12320
	ds_load_b128 v[60:63], v75 offset:6720
	;; [unrolled: 1-line block ×4, first 2 shown]
	s_wait_dscnt 0x2
	v_add_f64_e64 v[120:121], v[62:63], -v[30:31]
	v_add_f64_e32 v[100:101], v[62:63], v[30:31]
	v_add_f64_e32 v[102:103], v[60:61], v[28:29]
	v_add_f64_e64 v[126:127], v[60:61], -v[28:29]
	s_wait_dscnt 0x0
	v_add_f64_e64 v[122:123], v[66:67], -v[38:39]
	v_add_f64_e32 v[104:105], v[66:67], v[38:39]
	v_add_f64_e32 v[106:107], v[64:65], v[36:37]
	v_add_f64_e64 v[130:131], v[64:65], -v[36:37]
	v_add_f64_e32 v[0:1], v[56:57], v[0:1]
	v_add_f64_e32 v[2:3], v[58:59], v[2:3]
	v_mul_f64_e32 v[156:157], s[36:37], v[120:121]
	v_mul_f64_e32 v[158:159], s[24:25], v[100:101]
	;; [unrolled: 1-line block ×4, first 2 shown]
	v_add_f64_e32 v[0:1], v[68:69], v[0:1]
	v_add_f64_e32 v[2:3], v[70:71], v[2:3]
	ds_load_b128 v[68:71], v75 offset:8960
	ds_load_b128 v[56:59], v75 offset:10080
	global_wb scope:SCOPE_SE
	s_wait_dscnt 0x0
	s_barrier_signal -1
	s_barrier_wait -1
	global_inv scope:SCOPE_SE
	v_add_f64_e64 v[128:129], v[70:71], -v[58:59]
	v_add_f64_e32 v[112:113], v[70:71], v[58:59]
	v_fma_f64 v[177:178], v[102:103], s[24:25], -v[156:157]
	v_fma_f64 v[179:180], v[126:127], s[36:37], v[158:159]
	v_fma_f64 v[181:182], v[106:107], s[26:27], -v[162:163]
	v_fma_f64 v[183:184], v[130:131], s[38:39], v[168:169]
	v_add_f64_e32 v[0:1], v[116:117], v[0:1]
	v_add_f64_e32 v[2:3], v[132:133], v[2:3]
	;; [unrolled: 1-line block ×3, first 2 shown]
	v_add_f64_e64 v[132:133], v[68:69], -v[56:57]
	v_mul_f64_e32 v[164:165], s[40:41], v[128:129]
	v_mul_f64_e32 v[170:171], s[28:29], v[112:113]
	v_add_f64_e32 v[0:1], v[177:178], v[0:1]
	v_add_f64_e32 v[2:3], v[179:180], v[2:3]
	s_delay_alu instid0(VALU_DEP_4) | instskip(NEXT) | instid1(VALU_DEP_4)
	v_fma_f64 v[177:178], v[116:117], s[28:29], -v[164:165]
	v_fma_f64 v[179:180], v[132:133], s[40:41], v[170:171]
	s_delay_alu instid0(VALU_DEP_4) | instskip(NEXT) | instid1(VALU_DEP_4)
	v_add_f64_e32 v[0:1], v[181:182], v[0:1]
	v_add_f64_e32 v[2:3], v[183:184], v[2:3]
	s_delay_alu instid0(VALU_DEP_2) | instskip(NEXT) | instid1(VALU_DEP_2)
	v_add_f64_e32 v[0:1], v[177:178], v[0:1]
	v_add_f64_e32 v[2:3], v[179:180], v[2:3]
	v_cmpx_gt_u32_e32 0x46, v74
	s_cbranch_execz .LBB0_20
; %bb.19:
	v_add_f64_e32 v[32:33], v[4:5], v[32:33]
	v_add_f64_e32 v[34:35], v[6:7], v[34:35]
	s_mov_b32 s1, 0xbfeec746
	s_mov_b32 s0, s30
	;; [unrolled: 1-line block ×8, first 2 shown]
	s_wait_alu 0xfffe
	v_mul_f64_e32 v[189:190], s[0:1], v[132:133]
	v_mul_f64_e32 v[191:192], s[0:1], v[128:129]
	;; [unrolled: 1-line block ×8, first 2 shown]
	s_mov_b32 s47, 0x3fd71e95
	s_mov_b32 s46, s36
	v_mul_f64_e32 v[215:216], s[42:43], v[132:133]
	v_mul_f64_e32 v[217:218], s[42:43], v[128:129]
	;; [unrolled: 1-line block ×5, first 2 shown]
	v_add_f64_e32 v[32:33], v[32:33], v[40:41]
	v_add_f64_e32 v[34:35], v[34:35], v[42:43]
	s_delay_alu instid0(VALU_DEP_2) | instskip(NEXT) | instid1(VALU_DEP_2)
	v_add_f64_e32 v[32:33], v[32:33], v[44:45]
	v_add_f64_e32 v[34:35], v[34:35], v[46:47]
	v_mul_f64_e32 v[46:47], s[40:41], v[152:153]
	s_delay_alu instid0(VALU_DEP_3) | instskip(NEXT) | instid1(VALU_DEP_3)
	v_add_f64_e32 v[32:33], v[32:33], v[48:49]
	v_add_f64_e32 v[34:35], v[34:35], v[50:51]
	v_mul_f64_e32 v[48:49], s[16:17], v[152:153]
	v_mul_f64_e32 v[50:51], s[38:39], v[152:153]
	s_delay_alu instid0(VALU_DEP_4) | instskip(NEXT) | instid1(VALU_DEP_4)
	v_add_f64_e32 v[32:33], v[32:33], v[52:53]
	v_add_f64_e32 v[34:35], v[34:35], v[54:55]
	v_mul_f64_e32 v[52:53], s[36:37], v[152:153]
	s_delay_alu instid0(VALU_DEP_3) | instskip(NEXT) | instid1(VALU_DEP_3)
	v_add_f64_e32 v[32:33], v[32:33], v[60:61]
	v_add_f64_e32 v[34:35], v[34:35], v[62:63]
	v_fma_f64 v[60:61], v[148:149], s[28:29], -v[46:47]
	v_fma_f64 v[46:47], v[148:149], s[28:29], v[46:47]
	v_fma_f64 v[62:63], v[148:149], s[4:5], -v[48:49]
	v_fma_f64 v[48:49], v[148:149], s[4:5], v[48:49]
	v_add_f64_e32 v[32:33], v[32:33], v[64:65]
	v_add_f64_e32 v[34:35], v[34:35], v[66:67]
	v_fma_f64 v[64:65], v[148:149], s[26:27], -v[50:51]
	v_fma_f64 v[50:51], v[148:149], s[26:27], v[50:51]
	v_fma_f64 v[66:67], v[148:149], s[24:25], -v[52:53]
	v_fma_f64 v[52:53], v[148:149], s[24:25], v[52:53]
	v_add_f64_e32 v[60:61], v[4:5], v[60:61]
	v_add_f64_e32 v[46:47], v[4:5], v[46:47]
	;; [unrolled: 1-line block ×8, first 2 shown]
	s_delay_alu instid0(VALU_DEP_4) | instskip(NEXT) | instid1(VALU_DEP_4)
	v_add_f64_e32 v[32:33], v[32:33], v[56:57]
	v_add_f64_e32 v[34:35], v[34:35], v[58:59]
	v_mul_f64_e32 v[56:57], s[0:1], v[152:153]
	v_mul_f64_e32 v[58:59], s[44:45], v[152:153]
	s_delay_alu instid0(VALU_DEP_4) | instskip(NEXT) | instid1(VALU_DEP_4)
	v_add_f64_e32 v[32:33], v[32:33], v[36:37]
	v_add_f64_e32 v[34:35], v[34:35], v[38:39]
	s_delay_alu instid0(VALU_DEP_4) | instskip(SKIP_1) | instid1(VALU_DEP_4)
	v_fma_f64 v[70:71], v[148:149], s[14:15], -v[56:57]
	v_fma_f64 v[56:57], v[148:149], s[14:15], v[56:57]
	v_add_f64_e32 v[28:29], v[32:33], v[28:29]
	s_delay_alu instid0(VALU_DEP_4) | instskip(NEXT) | instid1(VALU_DEP_4)
	v_add_f64_e32 v[30:31], v[34:35], v[30:31]
	v_add_f64_e32 v[70:71], v[4:5], v[70:71]
	s_delay_alu instid0(VALU_DEP_4) | instskip(NEXT) | instid1(VALU_DEP_4)
	v_add_f64_e32 v[56:57], v[4:5], v[56:57]
	v_add_f64_e32 v[24:25], v[28:29], v[24:25]
	s_delay_alu instid0(VALU_DEP_4) | instskip(SKIP_2) | instid1(VALU_DEP_4)
	v_add_f64_e32 v[26:27], v[30:31], v[26:27]
	v_mul_f64_e32 v[28:29], s[0:1], v[160:161]
	v_mul_f64_e32 v[30:31], s[44:45], v[160:161]
	v_add_f64_e32 v[20:21], v[24:25], v[20:21]
	s_delay_alu instid0(VALU_DEP_4)
	v_add_f64_e32 v[22:23], v[26:27], v[22:23]
	v_mul_f64_e32 v[24:25], s[22:23], v[114:115]
	s_mov_b32 s23, 0xbfc7851a
	v_fma_f64 v[42:43], v[154:155], s[14:15], v[28:29]
	s_wait_alu 0xfffe
	v_mul_f64_e32 v[26:27], s[22:23], v[160:161]
	v_mul_f64_e32 v[54:55], s[22:23], v[152:153]
	v_fma_f64 v[152:153], v[148:149], s[20:21], -v[58:59]
	v_fma_f64 v[58:59], v[148:149], s[20:21], v[58:59]
	v_fma_f64 v[28:29], v[154:155], s[14:15], -v[28:29]
	v_fma_f64 v[44:45], v[154:155], s[20:21], v[30:31]
	v_fma_f64 v[30:31], v[154:155], s[20:21], -v[30:31]
	v_mul_f64_e32 v[205:206], s[22:23], v[132:133]
	v_mul_f64_e32 v[207:208], s[22:23], v[128:129]
	v_add_f64_e32 v[16:17], v[20:21], v[16:17]
	v_add_f64_e32 v[18:19], v[22:23], v[18:19]
	v_mul_f64_e32 v[20:21], s[38:39], v[160:161]
	v_mul_f64_e32 v[22:23], s[36:37], v[160:161]
	v_add_f64_e64 v[24:25], v[140:141], -v[24:25]
	v_fma_f64 v[40:41], v[154:155], s[12:13], v[26:27]
	v_fma_f64 v[26:27], v[154:155], s[12:13], -v[26:27]
	v_fma_f64 v[68:69], v[148:149], s[12:13], -v[54:55]
	v_fma_f64 v[54:55], v[148:149], s[12:13], v[54:55]
	v_add_f64_e32 v[152:153], v[4:5], v[152:153]
	v_add_f64_e32 v[58:59], v[4:5], v[58:59]
	;; [unrolled: 1-line block ×5, first 2 shown]
	v_mul_f64_e32 v[140:141], s[46:47], v[118:119]
	v_add_f64_e32 v[12:13], v[16:17], v[12:13]
	v_add_f64_e32 v[14:15], v[18:19], v[14:15]
	v_mul_f64_e32 v[16:17], s[40:41], v[160:161]
	v_fma_f64 v[36:37], v[154:155], s[26:27], v[20:21]
	v_fma_f64 v[20:21], v[154:155], s[26:27], -v[20:21]
	v_fma_f64 v[38:39], v[154:155], s[24:25], v[22:23]
	v_fma_f64 v[22:23], v[154:155], s[24:25], -v[22:23]
	v_mul_f64_e32 v[18:19], s[16:17], v[160:161]
	v_add_f64_e32 v[54:55], v[4:5], v[54:55]
	v_add_f64_e32 v[40:41], v[6:7], v[40:41]
	;; [unrolled: 1-line block ×3, first 2 shown]
	v_mul_f64_e32 v[12:13], s[18:19], v[160:161]
	v_add_f64_e32 v[10:11], v[14:15], v[10:11]
	v_mul_f64_e32 v[14:15], s[10:11], v[148:149]
	v_fma_f64 v[32:33], v[154:155], s[28:29], v[16:17]
	v_fma_f64 v[16:17], v[154:155], s[28:29], -v[16:17]
	v_add_f64_e32 v[160:161], v[6:7], v[36:37]
	v_add_f64_e32 v[36:37], v[6:7], v[20:21]
	;; [unrolled: 1-line block ×5, first 2 shown]
	v_fma_f64 v[34:35], v[154:155], s[4:5], v[18:19]
	v_fma_f64 v[18:19], v[154:155], s[4:5], -v[18:19]
	v_add_f64_e32 v[68:69], v[6:7], v[42:43]
	v_add_f64_e64 v[12:13], v[172:173], -v[12:13]
	v_add_f64_e32 v[14:15], v[14:15], v[166:167]
	v_add_f64_e32 v[32:33], v[6:7], v[32:33]
	;; [unrolled: 1-line block ×5, first 2 shown]
	v_mul_f64_e32 v[26:27], s[38:39], v[114:115]
	v_add_f64_e32 v[154:155], v[6:7], v[34:35]
	v_add_f64_e32 v[34:35], v[6:7], v[18:19]
	;; [unrolled: 1-line block ×4, first 2 shown]
	v_mul_f64_e32 v[12:13], s[42:43], v[96:97]
	v_add_f64_e32 v[172:173], v[4:5], v[14:15]
	v_mul_f64_e32 v[14:15], s[42:43], v[92:93]
	v_fma_f64 v[28:29], v[82:83], s[26:27], v[26:27]
	v_fma_f64 v[26:27], v[82:83], s[26:27], -v[26:27]
	v_fma_f64 v[4:5], v[78:79], s[10:11], v[12:13]
	v_fma_f64 v[12:13], v[78:79], s[10:11], -v[12:13]
	v_fma_f64 v[6:7], v[80:81], s[10:11], -v[14:15]
	v_fma_f64 v[14:15], v[80:81], s[10:11], v[14:15]
	s_delay_alu instid0(VALU_DEP_4) | instskip(NEXT) | instid1(VALU_DEP_4)
	v_add_f64_e32 v[4:5], v[4:5], v[32:33]
	v_add_f64_e32 v[12:13], v[12:13], v[148:149]
	s_delay_alu instid0(VALU_DEP_4) | instskip(NEXT) | instid1(VALU_DEP_4)
	v_add_f64_e32 v[6:7], v[6:7], v[60:61]
	v_add_f64_e32 v[14:15], v[14:15], v[46:47]
	v_mul_f64_e32 v[148:149], s[44:45], v[96:97]
	v_mul_f64_e32 v[46:47], s[36:37], v[126:127]
	v_add_f64_e32 v[4:5], v[28:29], v[4:5]
	v_mul_f64_e32 v[28:29], s[38:39], v[94:95]
	v_add_f64_e32 v[12:13], v[26:27], v[12:13]
	s_delay_alu instid0(VALU_DEP_4) | instskip(SKIP_1) | instid1(VALU_DEP_4)
	v_add_f64_e64 v[46:47], v[158:159], -v[46:47]
	v_mul_f64_e32 v[158:159], s[48:49], v[130:131]
	v_fma_f64 v[30:31], v[84:85], s[26:27], -v[28:29]
	v_fma_f64 v[26:27], v[84:85], s[26:27], v[28:29]
	v_fma_f64 v[28:29], v[116:117], s[14:15], v[191:192]
	s_delay_alu instid0(VALU_DEP_3) | instskip(SKIP_1) | instid1(VALU_DEP_4)
	v_add_f64_e32 v[6:7], v[30:31], v[6:7]
	v_mul_f64_e32 v[30:31], s[48:49], v[118:119]
	v_add_f64_e32 v[14:15], v[26:27], v[14:15]
	s_delay_alu instid0(VALU_DEP_2) | instskip(SKIP_2) | instid1(VALU_DEP_3)
	v_fma_f64 v[32:33], v[86:87], s[4:5], v[30:31]
	v_fma_f64 v[26:27], v[86:87], s[4:5], -v[30:31]
	v_mul_f64_e32 v[30:31], s[14:15], v[88:89]
	v_add_f64_e32 v[4:5], v[32:33], v[4:5]
	v_mul_f64_e32 v[32:33], s[48:49], v[108:109]
	s_delay_alu instid0(VALU_DEP_4) | instskip(NEXT) | instid1(VALU_DEP_4)
	v_add_f64_e32 v[12:13], v[26:27], v[12:13]
	v_add_f64_e32 v[30:31], v[30:31], v[142:143]
	v_mul_f64_e32 v[142:143], s[46:47], v[108:109]
	s_delay_alu instid0(VALU_DEP_4) | instskip(SKIP_2) | instid1(VALU_DEP_3)
	v_fma_f64 v[38:39], v[88:89], s[4:5], -v[32:33]
	v_fma_f64 v[26:27], v[88:89], s[4:5], v[32:33]
	v_mul_f64_e32 v[32:33], s[12:13], v[84:85]
	v_add_f64_e32 v[6:7], v[38:39], v[6:7]
	v_mul_f64_e32 v[38:39], s[36:37], v[124:125]
	s_delay_alu instid0(VALU_DEP_4) | instskip(NEXT) | instid1(VALU_DEP_4)
	v_add_f64_e32 v[14:15], v[26:27], v[14:15]
	v_add_f64_e32 v[32:33], v[32:33], v[138:139]
	v_mul_f64_e32 v[138:139], s[30:31], v[94:95]
	s_delay_alu instid0(VALU_DEP_4) | instskip(SKIP_2) | instid1(VALU_DEP_3)
	v_fma_f64 v[42:43], v[90:91], s[24:25], v[38:39]
	v_fma_f64 v[26:27], v[90:91], s[24:25], -v[38:39]
	v_mul_f64_e32 v[38:39], s[4:5], v[80:81]
	v_add_f64_e32 v[4:5], v[42:43], v[4:5]
	v_mul_f64_e32 v[42:43], s[36:37], v[110:111]
	s_delay_alu instid0(VALU_DEP_4) | instskip(NEXT) | instid1(VALU_DEP_4)
	v_add_f64_e32 v[12:13], v[26:27], v[12:13]
	v_add_f64_e32 v[38:39], v[38:39], v[134:135]
	v_mul_f64_e32 v[134:135], s[22:23], v[92:93]
	s_delay_alu instid0(VALU_DEP_4) | instskip(SKIP_1) | instid1(VALU_DEP_4)
	v_fma_f64 v[44:45], v[98:99], s[24:25], -v[42:43]
	v_fma_f64 v[26:27], v[98:99], s[24:25], v[42:43]
	v_add_f64_e32 v[38:39], v[38:39], v[172:173]
	v_mul_f64_e32 v[42:43], s[34:35], v[124:125]
	s_delay_alu instid0(VALU_DEP_4) | instskip(SKIP_2) | instid1(VALU_DEP_4)
	v_add_f64_e32 v[6:7], v[44:45], v[6:7]
	v_mul_f64_e32 v[44:45], s[22:23], v[126:127]
	v_add_f64_e32 v[14:15], v[26:27], v[14:15]
	v_add_f64_e64 v[42:43], v[150:151], -v[42:43]
	v_mul_f64_e32 v[150:151], s[40:41], v[126:127]
	s_delay_alu instid0(VALU_DEP_4) | instskip(SKIP_2) | instid1(VALU_DEP_3)
	v_fma_f64 v[60:61], v[100:101], s[12:13], v[44:45]
	v_fma_f64 v[26:27], v[100:101], s[12:13], -v[44:45]
	v_mul_f64_e32 v[44:45], s[20:21], v[98:99]
	v_add_f64_e32 v[4:5], v[60:61], v[4:5]
	v_mul_f64_e32 v[60:61], s[22:23], v[120:121]
	s_delay_alu instid0(VALU_DEP_4) | instskip(NEXT) | instid1(VALU_DEP_4)
	v_add_f64_e32 v[12:13], v[26:27], v[12:13]
	v_add_f64_e32 v[44:45], v[44:45], v[146:147]
	v_mul_f64_e32 v[146:147], s[18:19], v[110:111]
	s_delay_alu instid0(VALU_DEP_4) | instskip(SKIP_2) | instid1(VALU_DEP_3)
	v_fma_f64 v[183:184], v[102:103], s[12:13], -v[60:61]
	v_fma_f64 v[26:27], v[102:103], s[12:13], v[60:61]
	v_mul_f64_e32 v[60:61], s[24:25], v[102:103]
	v_add_f64_e32 v[6:7], v[183:184], v[6:7]
	v_mul_f64_e32 v[183:184], s[34:35], v[130:131]
	s_delay_alu instid0(VALU_DEP_4) | instskip(NEXT) | instid1(VALU_DEP_4)
	v_add_f64_e32 v[14:15], v[26:27], v[14:15]
	v_add_f64_e32 v[60:61], v[60:61], v[156:157]
	v_mul_f64_e32 v[156:157], s[40:41], v[120:121]
	s_delay_alu instid0(VALU_DEP_4) | instskip(SKIP_2) | instid1(VALU_DEP_3)
	v_fma_f64 v[185:186], v[104:105], s[20:21], v[183:184]
	v_fma_f64 v[26:27], v[104:105], s[20:21], -v[183:184]
	v_mul_f64_e32 v[183:184], s[44:45], v[92:93]
	v_add_f64_e32 v[4:5], v[185:186], v[4:5]
	v_mul_f64_e32 v[185:186], s[34:35], v[122:123]
	s_delay_alu instid0(VALU_DEP_4) | instskip(NEXT) | instid1(VALU_DEP_2)
	v_add_f64_e32 v[12:13], v[26:27], v[12:13]
	v_fma_f64 v[26:27], v[106:107], s[20:21], v[185:186]
	v_fma_f64 v[187:188], v[106:107], s[20:21], -v[185:186]
	v_mul_f64_e32 v[185:186], s[18:19], v[114:115]
	s_delay_alu instid0(VALU_DEP_3) | instskip(SKIP_1) | instid1(VALU_DEP_4)
	v_add_f64_e32 v[26:27], v[26:27], v[14:15]
	v_fma_f64 v[14:15], v[112:113], s[14:15], -v[189:190]
	v_add_f64_e32 v[187:188], v[187:188], v[6:7]
	v_fma_f64 v[6:7], v[112:113], s[14:15], v[189:190]
	v_mul_f64_e32 v[189:190], s[38:39], v[118:119]
	s_delay_alu instid0(VALU_DEP_4)
	v_add_f64_e32 v[14:15], v[14:15], v[12:13]
	v_add_f64_e32 v[12:13], v[28:29], v[26:27]
	v_fma_f64 v[26:27], v[78:79], s[20:21], -v[148:149]
	v_add_f64_e32 v[6:7], v[6:7], v[4:5]
	v_fma_f64 v[4:5], v[116:117], s[14:15], -v[191:192]
	v_mul_f64_e32 v[191:192], s[38:39], v[108:109]
	v_mul_f64_e32 v[28:29], s[16:17], v[96:97]
	v_add_f64_e32 v[20:21], v[26:27], v[20:21]
	v_fma_f64 v[26:27], v[80:81], s[20:21], v[183:184]
	v_add_f64_e32 v[4:5], v[4:5], v[187:188]
	v_mul_f64_e32 v[187:188], s[18:19], v[94:95]
	v_add_f64_e64 v[28:29], v[136:137], -v[28:29]
	v_mul_f64_e32 v[136:137], s[30:31], v[114:115]
	v_add_f64_e32 v[22:23], v[26:27], v[22:23]
	v_fma_f64 v[26:27], v[82:83], s[10:11], -v[185:186]
	s_delay_alu instid0(VALU_DEP_4) | instskip(SKIP_1) | instid1(VALU_DEP_3)
	v_add_f64_e32 v[28:29], v[28:29], v[166:167]
	v_mul_f64_e32 v[166:167], s[34:35], v[128:129]
	v_add_f64_e32 v[20:21], v[26:27], v[20:21]
	v_fma_f64 v[26:27], v[84:85], s[10:11], v[187:188]
	s_delay_alu instid0(VALU_DEP_4)
	v_add_f64_e32 v[24:25], v[24:25], v[28:29]
	v_add_f64_e32 v[28:29], v[32:33], v[38:39]
	v_mul_f64_e32 v[32:33], s[38:39], v[130:131]
	v_mul_f64_e32 v[38:39], s[28:29], v[116:117]
	v_add_f64_e32 v[22:23], v[26:27], v[22:23]
	v_fma_f64 v[26:27], v[86:87], s[26:27], -v[189:190]
	s_delay_alu instid0(VALU_DEP_4) | instskip(NEXT) | instid1(VALU_DEP_4)
	v_add_f64_e64 v[32:33], v[168:169], -v[32:33]
	v_add_f64_e32 v[38:39], v[38:39], v[164:165]
	v_mul_f64_e32 v[164:165], s[34:35], v[132:133]
	s_delay_alu instid0(VALU_DEP_4) | instskip(SKIP_1) | instid1(VALU_DEP_1)
	v_add_f64_e32 v[20:21], v[26:27], v[20:21]
	v_fma_f64 v[26:27], v[88:89], s[26:27], v[191:192]
	v_add_f64_e32 v[22:23], v[26:27], v[22:23]
	v_fma_f64 v[26:27], v[90:91], s[14:15], -v[193:194]
	s_delay_alu instid0(VALU_DEP_1) | instskip(SKIP_1) | instid1(VALU_DEP_1)
	v_add_f64_e32 v[20:21], v[26:27], v[20:21]
	v_fma_f64 v[26:27], v[98:99], s[14:15], v[195:196]
	v_add_f64_e32 v[22:23], v[26:27], v[22:23]
	v_fma_f64 v[26:27], v[100:101], s[4:5], -v[197:198]
	s_delay_alu instid0(VALU_DEP_1) | instskip(SKIP_1) | instid1(VALU_DEP_1)
	;; [unrolled: 5-line block ×4, first 2 shown]
	v_add_f64_e32 v[22:23], v[22:23], v[20:21]
	v_fma_f64 v[20:21], v[116:117], s[12:13], v[207:208]
	v_add_f64_e32 v[20:21], v[20:21], v[26:27]
	v_mul_f64_e32 v[26:27], s[30:31], v[118:119]
	s_delay_alu instid0(VALU_DEP_1) | instskip(SKIP_1) | instid1(VALU_DEP_2)
	v_add_f64_e64 v[26:27], v[144:145], -v[26:27]
	v_mul_f64_e32 v[144:145], s[18:19], v[124:125]
	v_add_f64_e32 v[24:25], v[26:27], v[24:25]
	v_add_f64_e32 v[26:27], v[30:31], v[28:29]
	v_mul_f64_e32 v[28:29], s[26:27], v[106:107]
	v_mul_f64_e32 v[30:31], s[40:41], v[132:133]
	s_delay_alu instid0(VALU_DEP_4) | instskip(NEXT) | instid1(VALU_DEP_4)
	v_add_f64_e32 v[24:25], v[42:43], v[24:25]
	v_add_f64_e32 v[26:27], v[44:45], v[26:27]
	s_delay_alu instid0(VALU_DEP_4) | instskip(NEXT) | instid1(VALU_DEP_4)
	v_add_f64_e32 v[28:29], v[28:29], v[162:163]
	v_add_f64_e64 v[30:31], v[170:171], -v[30:31]
	v_mul_f64_e32 v[162:163], s[48:49], v[122:123]
	v_mul_f64_e32 v[42:43], s[36:37], v[114:115]
	s_mov_b32 s49, 0x3fefdd0d
	s_mov_b32 s48, s38
	v_add_f64_e32 v[24:25], v[46:47], v[24:25]
	v_add_f64_e32 v[26:27], v[60:61], v[26:27]
	v_mul_f64_e32 v[60:61], s[22:23], v[96:97]
	s_delay_alu instid0(VALU_DEP_4) | instskip(SKIP_4) | instid1(VALU_DEP_3)
	v_fma_f64 v[44:45], v[82:83], s[24:25], -v[42:43]
	v_fma_f64 v[42:43], v[82:83], s[24:25], v[42:43]
	v_add_f64_e32 v[24:25], v[32:33], v[24:25]
	v_add_f64_e32 v[28:29], v[28:29], v[26:27]
	v_fma_f64 v[32:33], v[82:83], s[14:15], -v[136:137]
	v_add_f64_e32 v[26:27], v[30:31], v[24:25]
	s_delay_alu instid0(VALU_DEP_3) | instskip(SKIP_4) | instid1(VALU_DEP_4)
	v_add_f64_e32 v[24:25], v[38:39], v[28:29]
	v_fma_f64 v[28:29], v[78:79], s[12:13], -v[60:61]
	v_fma_f64 v[30:31], v[80:81], s[12:13], v[134:135]
	v_mul_f64_e32 v[38:39], s[30:31], v[92:93]
	v_fma_f64 v[60:61], v[78:79], s[12:13], v[60:61]
	v_add_f64_e32 v[28:29], v[28:29], v[36:37]
	s_delay_alu instid0(VALU_DEP_4) | instskip(SKIP_1) | instid1(VALU_DEP_4)
	v_add_f64_e32 v[30:31], v[30:31], v[50:51]
	v_mul_f64_e32 v[36:37], s[30:31], v[96:97]
	v_add_f64_e32 v[60:61], v[60:61], v[160:161]
	s_delay_alu instid0(VALU_DEP_4) | instskip(SKIP_1) | instid1(VALU_DEP_1)
	v_add_f64_e32 v[28:29], v[32:33], v[28:29]
	v_fma_f64 v[32:33], v[84:85], s[14:15], v[138:139]
	v_add_f64_e32 v[30:31], v[32:33], v[30:31]
	v_fma_f64 v[32:33], v[86:87], s[24:25], -v[140:141]
	s_delay_alu instid0(VALU_DEP_1) | instskip(SKIP_1) | instid1(VALU_DEP_1)
	v_add_f64_e32 v[28:29], v[32:33], v[28:29]
	v_fma_f64 v[32:33], v[88:89], s[24:25], v[142:143]
	v_add_f64_e32 v[30:31], v[32:33], v[30:31]
	v_fma_f64 v[32:33], v[90:91], s[10:11], -v[144:145]
	s_delay_alu instid0(VALU_DEP_1) | instskip(SKIP_1) | instid1(VALU_DEP_1)
	;; [unrolled: 5-line block ×5, first 2 shown]
	v_add_f64_e32 v[30:31], v[30:31], v[28:29]
	v_fma_f64 v[28:29], v[116:117], s[20:21], v[166:167]
	v_add_f64_e32 v[28:29], v[28:29], v[32:33]
	v_fma_f64 v[32:33], v[78:79], s[14:15], -v[36:37]
	v_fma_f64 v[36:37], v[78:79], s[14:15], v[36:37]
	s_delay_alu instid0(VALU_DEP_2) | instskip(SKIP_1) | instid1(VALU_DEP_3)
	v_add_f64_e32 v[32:33], v[32:33], v[34:35]
	v_fma_f64 v[34:35], v[80:81], s[14:15], v[38:39]
	v_add_f64_e32 v[36:37], v[36:37], v[154:155]
	v_fma_f64 v[38:39], v[80:81], s[14:15], -v[38:39]
	s_delay_alu instid0(VALU_DEP_4) | instskip(SKIP_2) | instid1(VALU_DEP_4)
	v_add_f64_e32 v[32:33], v[44:45], v[32:33]
	v_mul_f64_e32 v[44:45], s[36:37], v[94:95]
	v_add_f64_e32 v[34:35], v[34:35], v[48:49]
	v_add_f64_e32 v[38:39], v[38:39], v[62:63]
	;; [unrolled: 1-line block ×3, first 2 shown]
	s_delay_alu instid0(VALU_DEP_4) | instskip(SKIP_2) | instid1(VALU_DEP_3)
	v_fma_f64 v[46:47], v[84:85], s[24:25], v[44:45]
	v_fma_f64 v[42:43], v[84:85], s[24:25], -v[44:45]
	v_fma_f64 v[44:45], v[116:117], s[10:11], -v[217:218]
	v_add_f64_e32 v[34:35], v[46:47], v[34:35]
	v_mul_f64_e32 v[46:47], s[40:41], v[118:119]
	s_delay_alu instid0(VALU_DEP_4) | instskip(NEXT) | instid1(VALU_DEP_2)
	v_add_f64_e32 v[38:39], v[42:43], v[38:39]
	v_fma_f64 v[48:49], v[86:87], s[28:29], -v[46:47]
	v_fma_f64 v[42:43], v[86:87], s[28:29], v[46:47]
	v_mul_f64_e32 v[46:47], s[46:47], v[92:93]
	s_delay_alu instid0(VALU_DEP_3) | instskip(SKIP_1) | instid1(VALU_DEP_4)
	v_add_f64_e32 v[32:33], v[48:49], v[32:33]
	v_mul_f64_e32 v[48:49], s[40:41], v[108:109]
	v_add_f64_e32 v[36:37], v[42:43], v[36:37]
	s_delay_alu instid0(VALU_DEP_2) | instskip(SKIP_2) | instid1(VALU_DEP_3)
	v_fma_f64 v[50:51], v[88:89], s[28:29], v[48:49]
	v_fma_f64 v[42:43], v[88:89], s[28:29], -v[48:49]
	v_mul_f64_e32 v[48:49], s[40:41], v[114:115]
	v_add_f64_e32 v[34:35], v[50:51], v[34:35]
	s_wait_alu 0xfffe
	v_mul_f64_e32 v[50:51], s[48:49], v[124:125]
	s_delay_alu instid0(VALU_DEP_4) | instskip(NEXT) | instid1(VALU_DEP_2)
	v_add_f64_e32 v[38:39], v[42:43], v[38:39]
	v_fma_f64 v[168:169], v[90:91], s[26:27], -v[50:51]
	v_fma_f64 v[42:43], v[90:91], s[26:27], v[50:51]
	v_fma_f64 v[50:51], v[82:83], s[28:29], v[48:49]
	v_fma_f64 v[48:49], v[82:83], s[28:29], -v[48:49]
	s_delay_alu instid0(VALU_DEP_4) | instskip(SKIP_2) | instid1(VALU_DEP_2)
	v_add_f64_e32 v[32:33], v[168:169], v[32:33]
	v_mul_f64_e32 v[168:169], s[48:49], v[110:111]
	v_add_f64_e32 v[36:37], v[42:43], v[36:37]
	v_fma_f64 v[170:171], v[98:99], s[26:27], v[168:169]
	v_fma_f64 v[42:43], v[98:99], s[26:27], -v[168:169]
	s_delay_alu instid0(VALU_DEP_2) | instskip(SKIP_1) | instid1(VALU_DEP_3)
	v_add_f64_e32 v[34:35], v[170:171], v[34:35]
	v_mul_f64_e32 v[170:171], s[44:45], v[126:127]
	v_add_f64_e32 v[38:39], v[42:43], v[38:39]
	s_delay_alu instid0(VALU_DEP_2) | instskip(SKIP_1) | instid1(VALU_DEP_2)
	v_fma_f64 v[172:173], v[100:101], s[20:21], -v[170:171]
	v_fma_f64 v[42:43], v[100:101], s[20:21], v[170:171]
	v_add_f64_e32 v[32:33], v[172:173], v[32:33]
	v_mul_f64_e32 v[172:173], s[44:45], v[120:121]
	s_delay_alu instid0(VALU_DEP_3) | instskip(NEXT) | instid1(VALU_DEP_2)
	v_add_f64_e32 v[36:37], v[42:43], v[36:37]
	v_fma_f64 v[209:210], v[102:103], s[20:21], v[172:173]
	v_fma_f64 v[42:43], v[102:103], s[20:21], -v[172:173]
	s_delay_alu instid0(VALU_DEP_2) | instskip(SKIP_1) | instid1(VALU_DEP_3)
	v_add_f64_e32 v[34:35], v[209:210], v[34:35]
	v_mul_f64_e32 v[209:210], s[22:23], v[130:131]
	v_add_f64_e32 v[38:39], v[42:43], v[38:39]
	s_delay_alu instid0(VALU_DEP_2) | instskip(SKIP_1) | instid1(VALU_DEP_2)
	v_fma_f64 v[211:212], v[104:105], s[12:13], -v[209:210]
	v_fma_f64 v[42:43], v[104:105], s[12:13], v[209:210]
	v_add_f64_e32 v[32:33], v[211:212], v[32:33]
	v_mul_f64_e32 v[211:212], s[22:23], v[122:123]
	s_delay_alu instid0(VALU_DEP_3) | instskip(NEXT) | instid1(VALU_DEP_2)
	v_add_f64_e32 v[36:37], v[42:43], v[36:37]
	v_fma_f64 v[42:43], v[106:107], s[12:13], -v[211:212]
	v_fma_f64 v[213:214], v[106:107], s[12:13], v[211:212]
	s_delay_alu instid0(VALU_DEP_2) | instskip(SKIP_1) | instid1(VALU_DEP_3)
	v_add_f64_e32 v[42:43], v[42:43], v[38:39]
	v_fma_f64 v[38:39], v[112:113], s[10:11], v[215:216]
	v_add_f64_e32 v[213:214], v[213:214], v[34:35]
	v_fma_f64 v[34:35], v[112:113], s[10:11], -v[215:216]
	v_mul_f64_e32 v[215:216], s[48:49], v[132:133]
	s_delay_alu instid0(VALU_DEP_4)
	v_add_f64_e32 v[38:39], v[38:39], v[36:37]
	v_add_f64_e32 v[36:37], v[44:45], v[42:43]
	v_mul_f64_e32 v[44:45], s[46:47], v[96:97]
	v_add_f64_e32 v[34:35], v[34:35], v[32:33]
	v_fma_f64 v[32:33], v[116:117], s[10:11], v[217:218]
	v_mul_f64_e32 v[217:218], s[48:49], v[128:129]
	v_mul_f64_e32 v[128:129], s[16:17], v[128:129]
	v_fma_f64 v[42:43], v[78:79], s[24:25], v[44:45]
	v_fma_f64 v[44:45], v[78:79], s[24:25], -v[44:45]
	v_add_f64_e32 v[32:33], v[32:33], v[213:214]
	s_delay_alu instid0(VALU_DEP_3) | instskip(SKIP_1) | instid1(VALU_DEP_4)
	v_add_f64_e32 v[40:41], v[42:43], v[40:41]
	v_fma_f64 v[42:43], v[80:81], s[24:25], -v[46:47]
	v_add_f64_e32 v[44:45], v[44:45], v[66:67]
	v_fma_f64 v[46:47], v[80:81], s[24:25], v[46:47]
	v_mul_f64_e32 v[66:67], s[38:39], v[96:97]
	v_add_f64_e32 v[40:41], v[50:51], v[40:41]
	v_mul_f64_e32 v[50:51], s[40:41], v[94:95]
	v_add_f64_e32 v[42:43], v[42:43], v[52:53]
	v_add_f64_e32 v[46:47], v[46:47], v[54:55]
	;; [unrolled: 1-line block ×3, first 2 shown]
	s_mov_b32 s41, 0x3fe0d888
	s_delay_alu instid0(VALU_DEP_4) | instskip(SKIP_2) | instid1(VALU_DEP_3)
	v_fma_f64 v[52:53], v[84:85], s[28:29], -v[50:51]
	v_fma_f64 v[48:49], v[84:85], s[28:29], v[50:51]
	v_fma_f64 v[50:51], v[116:117], s[26:27], v[217:218]
	v_add_f64_e32 v[42:43], v[52:53], v[42:43]
	v_mul_f64_e32 v[52:53], s[34:35], v[118:119]
	s_delay_alu instid0(VALU_DEP_4) | instskip(NEXT) | instid1(VALU_DEP_2)
	v_add_f64_e32 v[46:47], v[48:49], v[46:47]
	v_fma_f64 v[62:63], v[86:87], s[20:21], v[52:53]
	v_fma_f64 v[48:49], v[86:87], s[20:21], -v[52:53]
	s_delay_alu instid0(VALU_DEP_2) | instskip(SKIP_1) | instid1(VALU_DEP_3)
	v_add_f64_e32 v[40:41], v[62:63], v[40:41]
	v_mul_f64_e32 v[62:63], s[34:35], v[108:109]
	v_add_f64_e32 v[44:45], v[48:49], v[44:45]
	s_delay_alu instid0(VALU_DEP_2) | instskip(SKIP_3) | instid1(VALU_DEP_3)
	v_fma_f64 v[154:155], v[88:89], s[20:21], -v[62:63]
	v_fma_f64 v[48:49], v[88:89], s[20:21], v[62:63]
	s_wait_alu 0xfffe
	v_mul_f64_e32 v[62:63], s[40:41], v[92:93]
	v_add_f64_e32 v[42:43], v[154:155], v[42:43]
	v_mul_f64_e32 v[154:155], s[16:17], v[124:125]
	s_delay_alu instid0(VALU_DEP_4) | instskip(NEXT) | instid1(VALU_DEP_4)
	v_add_f64_e32 v[46:47], v[48:49], v[46:47]
	v_fma_f64 v[54:55], v[80:81], s[28:29], v[62:63]
	v_fma_f64 v[62:63], v[80:81], s[28:29], -v[62:63]
	s_delay_alu instid0(VALU_DEP_4)
	v_fma_f64 v[168:169], v[90:91], s[4:5], v[154:155]
	v_fma_f64 v[48:49], v[90:91], s[4:5], -v[154:155]
	v_mul_f64_e32 v[154:155], s[38:39], v[92:93]
	v_add_f64_e32 v[54:55], v[54:55], v[56:57]
	v_mul_f64_e32 v[56:57], s[34:35], v[114:115]
	v_add_f64_e32 v[62:63], v[62:63], v[70:71]
	v_fma_f64 v[70:71], v[116:117], s[24:25], -v[223:224]
	v_add_f64_e32 v[40:41], v[168:169], v[40:41]
	v_mul_f64_e32 v[168:169], s[16:17], v[110:111]
	v_add_f64_e32 v[44:45], v[48:49], v[44:45]
	v_fma_f64 v[92:93], v[82:83], s[20:21], -v[56:57]
	v_fma_f64 v[56:57], v[82:83], s[20:21], v[56:57]
	s_delay_alu instid0(VALU_DEP_4) | instskip(SKIP_2) | instid1(VALU_DEP_3)
	v_fma_f64 v[170:171], v[98:99], s[4:5], -v[168:169]
	v_fma_f64 v[48:49], v[98:99], s[4:5], v[168:169]
	v_mul_f64_e32 v[168:169], s[16:17], v[114:115]
	v_add_f64_e32 v[42:43], v[170:171], v[42:43]
	v_mul_f64_e32 v[170:171], s[42:43], v[126:127]
	s_delay_alu instid0(VALU_DEP_4) | instskip(NEXT) | instid1(VALU_DEP_4)
	v_add_f64_e32 v[46:47], v[48:49], v[46:47]
	v_fma_f64 v[52:53], v[82:83], s[4:5], -v[168:169]
	s_delay_alu instid0(VALU_DEP_3) | instskip(SKIP_2) | instid1(VALU_DEP_3)
	v_fma_f64 v[172:173], v[100:101], s[10:11], v[170:171]
	v_fma_f64 v[48:49], v[100:101], s[10:11], -v[170:171]
	v_mul_f64_e32 v[170:171], s[16:17], v[94:95]
	v_add_f64_e32 v[40:41], v[172:173], v[40:41]
	v_mul_f64_e32 v[172:173], s[42:43], v[120:121]
	s_delay_alu instid0(VALU_DEP_4) | instskip(NEXT) | instid1(VALU_DEP_2)
	v_add_f64_e32 v[44:45], v[48:49], v[44:45]
	v_fma_f64 v[209:210], v[102:103], s[10:11], -v[172:173]
	v_fma_f64 v[48:49], v[102:103], s[10:11], v[172:173]
	v_mul_f64_e32 v[172:173], s[22:23], v[118:119]
	s_delay_alu instid0(VALU_DEP_3) | instskip(SKIP_1) | instid1(VALU_DEP_4)
	v_add_f64_e32 v[42:43], v[209:210], v[42:43]
	v_mul_f64_e32 v[209:210], s[0:1], v[130:131]
	v_add_f64_e32 v[46:47], v[48:49], v[46:47]
	s_delay_alu instid0(VALU_DEP_2) | instskip(SKIP_2) | instid1(VALU_DEP_3)
	v_fma_f64 v[211:212], v[104:105], s[14:15], v[209:210]
	v_fma_f64 v[48:49], v[104:105], s[14:15], -v[209:210]
	v_mul_f64_e32 v[209:210], s[40:41], v[124:125]
	v_add_f64_e32 v[40:41], v[211:212], v[40:41]
	v_mul_f64_e32 v[211:212], s[0:1], v[122:123]
	s_delay_alu instid0(VALU_DEP_4) | instskip(SKIP_1) | instid1(VALU_DEP_3)
	v_add_f64_e32 v[44:45], v[48:49], v[44:45]
	v_mul_f64_e32 v[122:123], s[36:37], v[122:123]
	v_fma_f64 v[48:49], v[106:107], s[14:15], v[211:212]
	v_fma_f64 v[213:214], v[106:107], s[14:15], -v[211:212]
	v_mul_f64_e32 v[211:212], s[40:41], v[110:111]
	v_mul_f64_e32 v[110:111], s[22:23], v[110:111]
	s_delay_alu instid0(VALU_DEP_4) | instskip(SKIP_4) | instid1(VALU_DEP_4)
	v_add_f64_e32 v[48:49], v[48:49], v[46:47]
	v_fma_f64 v[46:47], v[112:113], s[26:27], -v[215:216]
	v_add_f64_e32 v[213:214], v[213:214], v[42:43]
	v_fma_f64 v[42:43], v[112:113], s[26:27], v[215:216]
	v_mul_f64_e32 v[215:216], s[30:31], v[120:121]
	v_add_f64_e32 v[46:47], v[46:47], v[44:45]
	v_add_f64_e32 v[44:45], v[50:51], v[48:49]
	v_fma_f64 v[48:49], v[78:79], s[26:27], -v[66:67]
	v_fma_f64 v[50:51], v[80:81], s[26:27], v[154:155]
	v_add_f64_e32 v[42:43], v[42:43], v[40:41]
	v_fma_f64 v[40:41], v[116:117], s[26:27], -v[217:218]
	v_mul_f64_e32 v[217:218], s[42:43], v[130:131]
	v_add_f64_e32 v[48:49], v[48:49], v[181:182]
	v_add_f64_e32 v[50:51], v[50:51], v[58:59]
	v_mul_f64_e32 v[181:182], s[22:23], v[108:109]
	v_add_f64_e32 v[40:41], v[40:41], v[213:214]
	v_mul_f64_e32 v[213:214], s[30:31], v[126:127]
	v_mul_f64_e32 v[58:59], s[40:41], v[96:97]
	v_add_f64_e32 v[48:49], v[52:53], v[48:49]
	v_fma_f64 v[52:53], v[84:85], s[4:5], v[170:171]
	s_delay_alu instid0(VALU_DEP_1) | instskip(SKIP_1) | instid1(VALU_DEP_1)
	v_add_f64_e32 v[50:51], v[52:53], v[50:51]
	v_fma_f64 v[52:53], v[86:87], s[12:13], -v[172:173]
	v_add_f64_e32 v[48:49], v[52:53], v[48:49]
	v_fma_f64 v[52:53], v[88:89], s[12:13], v[181:182]
	s_delay_alu instid0(VALU_DEP_1) | instskip(SKIP_1) | instid1(VALU_DEP_1)
	v_add_f64_e32 v[50:51], v[52:53], v[50:51]
	v_fma_f64 v[52:53], v[90:91], s[28:29], -v[209:210]
	;; [unrolled: 5-line block ×5, first 2 shown]
	v_add_f64_e32 v[50:51], v[50:51], v[48:49]
	v_fma_f64 v[48:49], v[116:117], s[24:25], v[223:224]
	s_delay_alu instid0(VALU_DEP_1) | instskip(SKIP_2) | instid1(VALU_DEP_2)
	v_add_f64_e32 v[48:49], v[48:49], v[52:53]
	v_fma_f64 v[52:53], v[78:79], s[28:29], -v[58:59]
	v_fma_f64 v[58:59], v[78:79], s[28:29], v[58:59]
	v_add_f64_e32 v[52:53], v[52:53], v[177:178]
	s_delay_alu instid0(VALU_DEP_2) | instskip(SKIP_1) | instid1(VALU_DEP_3)
	v_add_f64_e32 v[58:59], v[58:59], v[68:69]
	v_fma_f64 v[68:69], v[116:117], s[4:5], -v[128:129]
	v_add_f64_e32 v[52:53], v[92:93], v[52:53]
	v_mul_f64_e32 v[92:93], s[34:35], v[94:95]
	s_delay_alu instid0(VALU_DEP_4) | instskip(NEXT) | instid1(VALU_DEP_2)
	v_add_f64_e32 v[56:57], v[56:57], v[58:59]
	v_fma_f64 v[94:95], v[84:85], s[20:21], v[92:93]
	v_fma_f64 v[58:59], v[84:85], s[20:21], -v[92:93]
	s_delay_alu instid0(VALU_DEP_2) | instskip(SKIP_1) | instid1(VALU_DEP_3)
	v_add_f64_e32 v[54:55], v[94:95], v[54:55]
	v_mul_f64_e32 v[94:95], s[18:19], v[118:119]
	v_add_f64_e32 v[58:59], v[58:59], v[62:63]
	s_delay_alu instid0(VALU_DEP_2) | instskip(SKIP_1) | instid1(VALU_DEP_2)
	v_fma_f64 v[96:97], v[86:87], s[10:11], -v[94:95]
	v_fma_f64 v[62:63], v[86:87], s[10:11], v[94:95]
	v_add_f64_e32 v[52:53], v[96:97], v[52:53]
	v_mul_f64_e32 v[96:97], s[18:19], v[108:109]
	s_delay_alu instid0(VALU_DEP_3) | instskip(NEXT) | instid1(VALU_DEP_2)
	v_add_f64_e32 v[56:57], v[62:63], v[56:57]
	v_fma_f64 v[108:109], v[88:89], s[10:11], v[96:97]
	v_fma_f64 v[62:63], v[88:89], s[10:11], -v[96:97]
	s_delay_alu instid0(VALU_DEP_2) | instskip(SKIP_1) | instid1(VALU_DEP_3)
	v_add_f64_e32 v[54:55], v[108:109], v[54:55]
	v_mul_f64_e32 v[108:109], s[22:23], v[124:125]
	v_add_f64_e32 v[58:59], v[62:63], v[58:59]
	s_delay_alu instid0(VALU_DEP_2) | instskip(SKIP_1) | instid1(VALU_DEP_2)
	v_fma_f64 v[114:115], v[90:91], s[12:13], -v[108:109]
	v_fma_f64 v[62:63], v[90:91], s[12:13], v[108:109]
	v_add_f64_e32 v[52:53], v[114:115], v[52:53]
	v_fma_f64 v[114:115], v[98:99], s[12:13], v[110:111]
	s_delay_alu instid0(VALU_DEP_3) | instskip(SKIP_1) | instid1(VALU_DEP_3)
	v_add_f64_e32 v[56:57], v[62:63], v[56:57]
	v_fma_f64 v[62:63], v[98:99], s[12:13], -v[110:111]
	v_add_f64_e32 v[54:55], v[114:115], v[54:55]
	v_mul_f64_e32 v[114:115], s[48:49], v[126:127]
	s_delay_alu instid0(VALU_DEP_3) | instskip(SKIP_1) | instid1(VALU_DEP_3)
	v_add_f64_e32 v[58:59], v[62:63], v[58:59]
	v_mul_f64_e32 v[126:127], s[16:17], v[132:133]
	v_fma_f64 v[118:119], v[100:101], s[26:27], -v[114:115]
	v_fma_f64 v[62:63], v[100:101], s[26:27], v[114:115]
	s_delay_alu instid0(VALU_DEP_2) | instskip(SKIP_1) | instid1(VALU_DEP_3)
	v_add_f64_e32 v[52:53], v[118:119], v[52:53]
	v_mul_f64_e32 v[118:119], s[48:49], v[120:121]
	v_add_f64_e32 v[56:57], v[62:63], v[56:57]
	s_delay_alu instid0(VALU_DEP_2) | instskip(SKIP_1) | instid1(VALU_DEP_2)
	v_fma_f64 v[120:121], v[102:103], s[26:27], v[118:119]
	v_fma_f64 v[62:63], v[102:103], s[26:27], -v[118:119]
	v_add_f64_e32 v[54:55], v[120:121], v[54:55]
	v_mul_f64_e32 v[120:121], s[36:37], v[130:131]
	s_delay_alu instid0(VALU_DEP_3) | instskip(NEXT) | instid1(VALU_DEP_2)
	v_add_f64_e32 v[58:59], v[62:63], v[58:59]
	v_fma_f64 v[62:63], v[104:105], s[24:25], v[120:121]
	v_fma_f64 v[124:125], v[104:105], s[24:25], -v[120:121]
	s_delay_alu instid0(VALU_DEP_2) | instskip(SKIP_1) | instid1(VALU_DEP_3)
	v_add_f64_e32 v[56:57], v[62:63], v[56:57]
	v_fma_f64 v[62:63], v[106:107], s[24:25], -v[122:123]
	v_add_f64_e32 v[52:53], v[124:125], v[52:53]
	v_fma_f64 v[124:125], v[106:107], s[24:25], v[122:123]
	s_delay_alu instid0(VALU_DEP_3) | instskip(SKIP_1) | instid1(VALU_DEP_3)
	v_add_f64_e32 v[62:63], v[62:63], v[58:59]
	v_fma_f64 v[58:59], v[112:113], s[4:5], v[126:127]
	v_add_f64_e32 v[124:125], v[124:125], v[54:55]
	v_fma_f64 v[54:55], v[112:113], s[4:5], -v[126:127]
	s_delay_alu instid0(VALU_DEP_3)
	v_add_f64_e32 v[58:59], v[58:59], v[56:57]
	v_add_f64_e32 v[56:57], v[68:69], v[62:63]
	v_fma_f64 v[62:63], v[80:81], s[12:13], -v[134:135]
	v_fma_f64 v[68:69], v[116:117], s[20:21], -v[166:167]
	v_add_f64_e32 v[54:55], v[54:55], v[52:53]
	v_fma_f64 v[52:53], v[116:117], s[4:5], v[128:129]
	s_delay_alu instid0(VALU_DEP_4) | instskip(SKIP_1) | instid1(VALU_DEP_3)
	v_add_f64_e32 v[62:63], v[62:63], v[64:65]
	v_fma_f64 v[64:65], v[82:83], s[14:15], v[136:137]
	v_add_f64_e32 v[52:53], v[52:53], v[124:125]
	s_delay_alu instid0(VALU_DEP_2) | instskip(SKIP_1) | instid1(VALU_DEP_1)
	v_add_f64_e32 v[60:61], v[64:65], v[60:61]
	v_fma_f64 v[64:65], v[84:85], s[14:15], -v[138:139]
	v_add_f64_e32 v[62:63], v[64:65], v[62:63]
	v_fma_f64 v[64:65], v[86:87], s[24:25], v[140:141]
	s_delay_alu instid0(VALU_DEP_1) | instskip(SKIP_1) | instid1(VALU_DEP_1)
	v_add_f64_e32 v[60:61], v[64:65], v[60:61]
	v_fma_f64 v[64:65], v[88:89], s[24:25], -v[142:143]
	v_add_f64_e32 v[62:63], v[64:65], v[62:63]
	v_fma_f64 v[64:65], v[90:91], s[10:11], v[144:145]
	s_delay_alu instid0(VALU_DEP_1) | instskip(SKIP_1) | instid1(VALU_DEP_1)
	;; [unrolled: 5-line block ×4, first 2 shown]
	v_add_f64_e32 v[60:61], v[64:65], v[60:61]
	v_fma_f64 v[64:65], v[106:107], s[4:5], -v[162:163]
	v_add_f64_e32 v[64:65], v[64:65], v[62:63]
	v_fma_f64 v[62:63], v[112:113], s[20:21], v[164:165]
	s_delay_alu instid0(VALU_DEP_1) | instskip(NEXT) | instid1(VALU_DEP_3)
	v_add_f64_e32 v[62:63], v[62:63], v[60:61]
	v_add_f64_e32 v[60:61], v[68:69], v[64:65]
	v_fma_f64 v[64:65], v[78:79], s[26:27], v[66:67]
	v_fma_f64 v[66:67], v[80:81], s[26:27], -v[154:155]
	v_fma_f64 v[68:69], v[82:83], s[4:5], v[168:169]
	s_delay_alu instid0(VALU_DEP_3) | instskip(NEXT) | instid1(VALU_DEP_3)
	v_add_f64_e32 v[64:65], v[64:65], v[179:180]
	v_add_f64_e32 v[66:67], v[66:67], v[152:153]
	s_delay_alu instid0(VALU_DEP_2) | instskip(SKIP_1) | instid1(VALU_DEP_1)
	v_add_f64_e32 v[64:65], v[68:69], v[64:65]
	v_fma_f64 v[68:69], v[84:85], s[4:5], -v[170:171]
	v_add_f64_e32 v[66:67], v[68:69], v[66:67]
	v_fma_f64 v[68:69], v[86:87], s[12:13], v[172:173]
	s_delay_alu instid0(VALU_DEP_1) | instskip(SKIP_1) | instid1(VALU_DEP_1)
	v_add_f64_e32 v[64:65], v[68:69], v[64:65]
	v_fma_f64 v[68:69], v[88:89], s[12:13], -v[181:182]
	v_add_f64_e32 v[66:67], v[68:69], v[66:67]
	v_fma_f64 v[68:69], v[90:91], s[28:29], v[209:210]
	s_delay_alu instid0(VALU_DEP_1) | instskip(SKIP_1) | instid1(VALU_DEP_1)
	;; [unrolled: 5-line block ×4, first 2 shown]
	v_add_f64_e32 v[64:65], v[68:69], v[64:65]
	v_fma_f64 v[68:69], v[106:107], s[10:11], -v[219:220]
	v_add_f64_e32 v[68:69], v[68:69], v[66:67]
	v_fma_f64 v[66:67], v[112:113], s[24:25], v[221:222]
	s_delay_alu instid0(VALU_DEP_1) | instskip(NEXT) | instid1(VALU_DEP_3)
	v_add_f64_e32 v[66:67], v[66:67], v[64:65]
	v_add_f64_e32 v[64:65], v[70:71], v[68:69]
	v_fma_f64 v[68:69], v[78:79], s[20:21], v[148:149]
	v_fma_f64 v[70:71], v[80:81], s[20:21], -v[183:184]
	v_fma_f64 v[78:79], v[82:83], s[10:11], v[185:186]
	s_delay_alu instid0(VALU_DEP_3) | instskip(SKIP_1) | instid1(VALU_DEP_4)
	v_add_f64_e32 v[18:19], v[68:69], v[18:19]
	v_fma_f64 v[68:69], v[84:85], s[10:11], -v[187:188]
	v_add_f64_e32 v[16:17], v[70:71], v[16:17]
	v_fma_f64 v[70:71], v[86:87], s[26:27], v[189:190]
	s_delay_alu instid0(VALU_DEP_4) | instskip(SKIP_1) | instid1(VALU_DEP_4)
	v_add_f64_e32 v[18:19], v[78:79], v[18:19]
	v_fma_f64 v[78:79], v[88:89], s[26:27], -v[191:192]
	v_add_f64_e32 v[16:17], v[68:69], v[16:17]
	v_fma_f64 v[68:69], v[90:91], s[14:15], v[193:194]
	s_delay_alu instid0(VALU_DEP_4) | instskip(SKIP_1) | instid1(VALU_DEP_4)
	;; [unrolled: 5-line block ×5, first 2 shown]
	v_add_f64_e32 v[18:19], v[70:71], v[18:19]
	v_fma_f64 v[70:71], v[116:117], s[12:13], -v[207:208]
	v_add_f64_e32 v[16:17], v[78:79], v[16:17]
	s_delay_alu instid0(VALU_DEP_3) | instskip(SKIP_1) | instid1(VALU_DEP_3)
	v_add_f64_e32 v[18:19], v[68:69], v[18:19]
	v_mul_u32_u24_e32 v68, 0x110, v74
	v_add_f64_e32 v[16:17], v[70:71], v[16:17]
	s_delay_alu instid0(VALU_DEP_2)
	v_add3_u32 v68, 0, v68, v176
	ds_store_b128 v68, v[8:11]
	ds_store_b128 v68, v[20:23] offset:16
	ds_store_b128 v68, v[48:51] offset:32
	;; [unrolled: 1-line block ×16, first 2 shown]
.LBB0_20:
	s_or_b32 exec_lo, exec_lo, s33
	v_add_nc_u16 v62, v74, 0x55
	v_and_b32_e32 v4, 0xff, v74
	v_add_nc_u16 v60, v74, 0xaa
	v_add_nc_u32_e32 v12, 0xff, v74
	v_add_nc_u32_e32 v13, 0x154, v74
	v_and_b32_e32 v5, 0xff, v62
	v_mul_lo_u16 v64, 0xf1, v4
	v_and_b32_e32 v4, 0xff, v60
	v_add_nc_u32_e32 v14, 0x1a9, v74
	v_add_nc_u32_e32 v15, 0x1fe, v74
	v_mul_lo_u16 v63, 0xf1, v5
	v_lshrrev_b16 v71, 12, v64
	v_and_b32_e32 v5, 0xffff, v12
	v_and_b32_e32 v6, 0xffff, v13
	v_mul_lo_u16 v61, 0xf1, v4
	v_lshrrev_b16 v94, 12, v63
	v_mul_lo_u16 v7, v71, 17
	v_and_b32_e32 v9, 0xffff, v14
	v_mul_u32_u24_e32 v5, 0xf0f1, v5
	v_and_b32_e32 v10, 0xffff, v15
	v_mul_lo_u16 v8, v94, 17
	v_mul_u32_u24_e32 v6, 0xf0f1, v6
	v_lshrrev_b16 v95, 12, v61
	v_sub_nc_u16 v4, v74, v7
	v_lshrrev_b32_e32 v96, 20, v5
	v_sub_nc_u16 v7, v62, v8
	v_mul_u32_u24_e32 v8, 0xf0f1, v9
	v_mul_u32_u24_e32 v16, 0xf0f1, v10
	v_lshrrev_b32_e32 v99, 20, v6
	v_mul_lo_u16 v17, v95, 17
	v_mul_lo_u16 v18, v96, 17
	v_lshrrev_b32_e32 v100, 20, v8
	v_lshrrev_b32_e32 v101, 20, v16
	v_mul_lo_u16 v16, v99, 17
	v_sub_nc_u16 v17, v60, v17
	v_and_b32_e32 v4, 0xff, v4
	v_mul_lo_u16 v19, v100, 17
	v_sub_nc_u16 v12, v12, v18
	v_and_b32_e32 v7, 0xff, v7
	;; [unrolled: 3-line block ×3, first 2 shown]
	v_lshlrev_b32_e32 v97, 4, v4
	v_sub_nc_u16 v14, v14, v19
	v_and_b32_e32 v12, 0xffff, v12
	v_lshlrev_b32_e32 v98, 4, v7
	v_sub_nc_u16 v15, v15, v18
	v_and_b32_e32 v13, 0xffff, v13
	v_lshlrev_b32_e32 v102, 4, v16
	global_wb scope:SCOPE_SE
	s_wait_dscnt 0x0
	s_barrier_signal -1
	s_barrier_wait -1
	global_inv scope:SCOPE_SE
	s_clause 0x1
	global_load_b128 v[4:7], v97, s[8:9]
	global_load_b128 v[8:11], v98, s[8:9]
	v_and_b32_e32 v16, 0xffff, v14
	v_lshlrev_b32_e32 v103, 4, v12
	v_and_b32_e32 v20, 0xffff, v15
	v_lshlrev_b32_e32 v104, 4, v13
	global_load_b128 v[12:15], v102, s[8:9]
	v_lshlrev_b32_e32 v105, 4, v16
	global_load_b128 v[16:19], v103, s[8:9]
	v_lshlrev_b32_e32 v106, 4, v20
	s_clause 0x2
	global_load_b128 v[20:23], v104, s[8:9]
	global_load_b128 v[24:27], v105, s[8:9]
	global_load_b128 v[28:31], v106, s[8:9]
	ds_load_b128 v[32:35], v75 offset:9520
	ds_load_b128 v[36:39], v75 offset:10880
	ds_load_b128 v[40:43], v75 offset:12240
	ds_load_b128 v[44:47], v75 offset:13600
	ds_load_b128 v[48:51], v75 offset:14960
	ds_load_b128 v[52:55], v75 offset:16320
	ds_load_b128 v[56:59], v75 offset:17680
	ds_load_b128 v[65:68], v75 offset:8160
	v_cmp_gt_u32_e64 s0, 0x44, v74
	s_wait_loadcnt_dscnt 0x607
	v_mul_f64_e32 v[69:70], v[34:35], v[6:7]
	v_mul_f64_e32 v[6:7], v[32:33], v[6:7]
	s_wait_loadcnt_dscnt 0x506
	v_mul_f64_e32 v[78:79], v[38:39], v[10:11]
	v_mul_f64_e32 v[10:11], v[36:37], v[10:11]
	;; [unrolled: 3-line block ×7, first 2 shown]
	v_fma_f64 v[69:70], v[32:33], v[4:5], v[69:70]
	v_fma_f64 v[90:91], v[34:35], v[4:5], -v[6:7]
	v_fma_f64 v[78:79], v[36:37], v[8:9], v[78:79]
	v_fma_f64 v[8:9], v[38:39], v[8:9], -v[10:11]
	v_fma_f64 v[10:11], v[40:41], v[12:13], v[80:81]
	v_fma_f64 v[12:13], v[42:43], v[12:13], -v[14:15]
	v_fma_f64 v[14:15], v[44:45], v[16:17], v[82:83]
	v_fma_f64 v[80:81], v[46:47], v[16:17], -v[18:19]
	v_fma_f64 v[82:83], v[48:49], v[20:21], v[84:85]
	v_fma_f64 v[84:85], v[50:51], v[20:21], -v[22:23]
	v_fma_f64 v[86:87], v[52:53], v[24:25], v[86:87]
	v_fma_f64 v[92:93], v[54:55], v[24:25], -v[26:27]
	v_fma_f64 v[56:57], v[56:57], v[28:29], v[88:89]
	v_fma_f64 v[58:59], v[58:59], v[28:29], -v[30:31]
	ds_load_b128 v[4:7], v175
	ds_load_b128 v[16:19], v75 offset:1360
	ds_load_b128 v[20:23], v75 offset:2720
	;; [unrolled: 1-line block ×5, first 2 shown]
	global_wb scope:SCOPE_SE
	s_wait_dscnt 0x0
	s_barrier_signal -1
	s_barrier_wait -1
	global_inv scope:SCOPE_SE
	v_add_f64_e64 v[36:37], v[4:5], -v[69:70]
	v_add_f64_e64 v[38:39], v[6:7], -v[90:91]
	;; [unrolled: 1-line block ×14, first 2 shown]
	v_fma_f64 v[56:57], v[4:5], 2.0, -v[36:37]
	v_fma_f64 v[58:59], v[6:7], 2.0, -v[38:39]
	;; [unrolled: 1-line block ×14, first 2 shown]
	v_and_b32_e32 v32, 0xffff, v71
	v_and_b32_e32 v33, 0xffff, v94
	;; [unrolled: 1-line block ×3, first 2 shown]
	v_mad_u32_u24 v35, 0x220, v96, 0
	v_mad_u32_u24 v65, 0x220, v99, 0
	;; [unrolled: 1-line block ×7, first 2 shown]
	v_add3_u32 v32, v32, v97, v176
	v_add3_u32 v33, v33, v98, v176
	;; [unrolled: 1-line block ×7, first 2 shown]
	ds_store_b128 v32, v[56:59]
	ds_store_b128 v32, v[36:39] offset:272
	ds_store_b128 v33, v[78:81]
	ds_store_b128 v33, v[40:43] offset:272
	ds_store_b128 v34, v[20:23]
	ds_store_b128 v34, v[44:47] offset:272
	ds_store_b128 v35, v[24:27]
	ds_store_b128 v35, v[48:51] offset:272
	ds_store_b128 v65, v[28:31]
	ds_store_b128 v65, v[52:55] offset:272
	ds_store_b128 v66, v[4:7]
	ds_store_b128 v66, v[8:11] offset:272
	ds_store_b128 v67, v[16:19]
	ds_store_b128 v67, v[12:15] offset:272
	global_wb scope:SCOPE_SE
	s_wait_dscnt 0x0
	s_barrier_signal -1
	s_barrier_wait -1
	global_inv scope:SCOPE_SE
	ds_load_b128 v[24:27], v175
	ds_load_b128 v[20:23], v75 offset:1360
	ds_load_b128 v[44:47], v75 offset:3808
	;; [unrolled: 1-line block ×9, first 2 shown]
	s_and_saveexec_b32 s1, s0
	s_cbranch_execz .LBB0_22
; %bb.21:
	ds_load_b128 v[4:7], v75 offset:2720
	ds_load_b128 v[8:11], v75 offset:6528
	ds_load_b128 v[16:19], v75 offset:10336
	ds_load_b128 v[12:15], v75 offset:14144
	ds_load_b128 v[0:3], v75 offset:17952
.LBB0_22:
	s_wait_alu 0xfffe
	s_or_b32 exec_lo, exec_lo, s1
	v_lshrrev_b16 v132, 13, v64
	v_lshrrev_b16 v133, 13, v63
	s_mov_b32 s4, 0x134454ff
	s_mov_b32 s5, 0xbfee6f0e
	;; [unrolled: 1-line block ×3, first 2 shown]
	v_mul_lo_u16 v64, v132, 34
	s_wait_alu 0xfffe
	s_mov_b32 s10, s4
	s_mov_b32 s14, 0x4755a5e
	;; [unrolled: 1-line block ×4, first 2 shown]
	v_sub_nc_u16 v63, v74, v64
	v_mul_lo_u16 v64, v133, 34
	s_wait_alu 0xfffe
	s_mov_b32 s12, s14
	s_mov_b32 s16, 0x372fe950
	;; [unrolled: 1-line block ×3, first 2 shown]
	v_and_b32_e32 v134, 0xff, v63
	v_sub_nc_u16 v62, v62, v64
	s_delay_alu instid0(VALU_DEP_2) | instskip(NEXT) | instid1(VALU_DEP_2)
	v_lshlrev_b32_e32 v70, 6, v134
	v_and_b32_e32 v135, 0xff, v62
	s_clause 0x2
	global_load_b128 v[62:65], v70, s[8:9] offset:272
	global_load_b128 v[66:69], v70, s[8:9] offset:288
	;; [unrolled: 1-line block ×3, first 2 shown]
	v_lshlrev_b32_e32 v71, 6, v135
	s_clause 0x4
	global_load_b128 v[82:85], v70, s[8:9] offset:320
	global_load_b128 v[86:89], v71, s[8:9] offset:272
	global_load_b128 v[90:93], v71, s[8:9] offset:288
	global_load_b128 v[94:97], v71, s[8:9] offset:304
	global_load_b128 v[98:101], v71, s[8:9] offset:320
	global_wb scope:SCOPE_SE
	s_wait_loadcnt_dscnt 0x0
	s_barrier_signal -1
	s_barrier_wait -1
	global_inv scope:SCOPE_SE
	v_mul_f64_e32 v[70:71], v[46:47], v[64:65]
	v_mul_f64_e32 v[102:103], v[50:51], v[68:69]
	;; [unrolled: 1-line block ×16, first 2 shown]
	v_fma_f64 v[44:45], v[44:45], v[62:63], v[70:71]
	v_fma_f64 v[48:49], v[48:49], v[66:67], v[102:103]
	;; [unrolled: 1-line block ×3, first 2 shown]
	v_fma_f64 v[50:51], v[50:51], v[66:67], -v[68:69]
	v_fma_f64 v[54:55], v[54:55], v[78:79], -v[80:81]
	;; [unrolled: 1-line block ×3, first 2 shown]
	v_fma_f64 v[56:57], v[56:57], v[82:83], v[106:107]
	v_fma_f64 v[58:59], v[58:59], v[82:83], -v[84:85]
	v_fma_f64 v[32:33], v[32:33], v[90:91], v[110:111]
	v_fma_f64 v[36:37], v[36:37], v[94:95], v[112:113]
	v_fma_f64 v[34:35], v[34:35], v[90:91], -v[92:93]
	v_fma_f64 v[38:39], v[38:39], v[94:95], -v[96:97]
	v_fma_f64 v[28:29], v[28:29], v[86:87], v[108:109]
	v_fma_f64 v[30:31], v[30:31], v[86:87], -v[88:89]
	v_fma_f64 v[40:41], v[40:41], v[98:99], v[114:115]
	v_fma_f64 v[42:43], v[42:43], v[98:99], -v[100:101]
	v_add_f64_e32 v[84:85], v[24:25], v[44:45]
	v_add_f64_e32 v[62:63], v[48:49], v[52:53]
	;; [unrolled: 1-line block ×6, first 2 shown]
	v_add_f64_e64 v[86:87], v[46:47], -v[58:59]
	v_add_f64_e32 v[70:71], v[32:33], v[36:37]
	v_add_f64_e64 v[96:97], v[44:45], -v[56:57]
	v_add_f64_e32 v[80:81], v[34:35], v[38:39]
	v_add_f64_e32 v[92:93], v[20:21], v[28:29]
	v_add_f64_e64 v[88:89], v[50:51], -v[54:55]
	v_add_f64_e32 v[78:79], v[28:29], v[40:41]
	v_add_f64_e32 v[82:83], v[30:31], v[42:43]
	;; [unrolled: 1-line block ×3, first 2 shown]
	v_add_f64_e64 v[98:99], v[30:31], -v[42:43]
	v_add_f64_e64 v[100:101], v[28:29], -v[40:41]
	;; [unrolled: 1-line block ×16, first 2 shown]
	v_fma_f64 v[62:63], v[62:63], -0.5, v[24:25]
	v_fma_f64 v[66:67], v[66:67], -0.5, v[26:27]
	v_add_f64_e32 v[50:51], v[90:91], v[50:51]
	v_fma_f64 v[24:25], v[64:65], -0.5, v[24:25]
	v_add_f64_e64 v[64:65], v[48:49], -v[52:53]
	v_fma_f64 v[26:27], v[68:69], -0.5, v[26:27]
	v_fma_f64 v[70:71], v[70:71], -0.5, v[20:21]
	v_add_f64_e64 v[68:69], v[34:35], -v[38:39]
	v_fma_f64 v[80:81], v[80:81], -0.5, v[22:23]
	;; [unrolled: 3-line block ×3, first 2 shown]
	v_add_f64_e64 v[82:83], v[44:45], -v[48:49]
	v_add_f64_e64 v[44:45], v[48:49], -v[44:45]
	v_add_f64_e32 v[48:49], v[84:85], v[48:49]
	v_add_f64_e32 v[32:33], v[92:93], v[32:33]
	;; [unrolled: 1-line block ×5, first 2 shown]
	v_fma_f64 v[84:85], v[86:87], s[4:5], v[62:63]
	v_fma_f64 v[62:63], v[86:87], s[10:11], v[62:63]
	;; [unrolled: 1-line block ×16, first 2 shown]
	v_add_f64_e32 v[82:83], v[82:83], v[102:103]
	v_add_f64_e32 v[102:103], v[106:107], v[108:109]
	v_add_f64_e32 v[106:107], v[28:29], v[116:117]
	v_add_f64_e32 v[28:29], v[48:49], v[52:53]
	v_add_f64_e32 v[30:31], v[50:51], v[54:55]
	v_add_f64_e32 v[32:33], v[32:33], v[36:37]
	v_add_f64_e32 v[44:45], v[44:45], v[104:105]
	v_add_f64_e32 v[34:35], v[34:35], v[38:39]
	v_add_f64_e32 v[104:105], v[112:113], v[114:115]
	v_add_f64_e32 v[108:109], v[118:119], v[120:121]
	v_fma_f64 v[36:37], v[88:89], s[14:15], v[84:85]
	s_wait_alu 0xfffe
	v_fma_f64 v[38:39], v[88:89], s[12:13], v[62:63]
	v_fma_f64 v[52:53], v[64:65], s[12:13], v[92:93]
	;; [unrolled: 1-line block ×15, first 2 shown]
	v_add_f64_e32 v[20:21], v[28:29], v[56:57]
	v_add_f64_e32 v[22:23], v[30:31], v[58:59]
	;; [unrolled: 1-line block ×4, first 2 shown]
	v_fma_f64 v[28:29], v[82:83], s[16:17], v[36:37]
	v_fma_f64 v[32:33], v[82:83], s[16:17], v[38:39]
	;; [unrolled: 1-line block ×16, first 2 shown]
	v_and_b32_e32 v62, 0xffff, v132
	v_and_b32_e32 v63, 0xffff, v133
	v_lshlrev_b32_e32 v64, 4, v134
	v_lshlrev_b32_e32 v65, 4, v135
	s_delay_alu instid0(VALU_DEP_4) | instskip(NEXT) | instid1(VALU_DEP_4)
	v_mad_u32_u24 v62, 0xaa0, v62, 0
	v_mad_u32_u24 v63, 0xaa0, v63, 0
	s_delay_alu instid0(VALU_DEP_2) | instskip(NEXT) | instid1(VALU_DEP_2)
	v_add3_u32 v62, v62, v64, v176
	v_add3_u32 v63, v63, v65, v176
	ds_store_b128 v62, v[20:23]
	ds_store_b128 v62, v[28:31] offset:544
	ds_store_b128 v62, v[36:39] offset:1088
	;; [unrolled: 1-line block ×4, first 2 shown]
	ds_store_b128 v63, v[24:27]
	ds_store_b128 v63, v[44:47] offset:544
	ds_store_b128 v63, v[52:55] offset:1088
	;; [unrolled: 1-line block ×4, first 2 shown]
	s_and_saveexec_b32 s1, s0
	s_cbranch_execz .LBB0_24
; %bb.23:
	v_lshrrev_b16 v52, 13, v61
	s_delay_alu instid0(VALU_DEP_1) | instskip(NEXT) | instid1(VALU_DEP_1)
	v_mul_lo_u16 v20, v52, 34
	v_sub_nc_u16 v20, v60, v20
	s_delay_alu instid0(VALU_DEP_1) | instskip(NEXT) | instid1(VALU_DEP_1)
	v_and_b32_e32 v53, 0xff, v20
	v_lshlrev_b32_e32 v32, 6, v53
	s_clause 0x3
	global_load_b128 v[20:23], v32, s[8:9] offset:288
	global_load_b128 v[24:27], v32, s[8:9] offset:272
	global_load_b128 v[28:31], v32, s[8:9] offset:320
	global_load_b128 v[32:35], v32, s[8:9] offset:304
	s_wait_loadcnt 0x3
	v_mul_f64_e32 v[36:37], v[16:17], v[22:23]
	s_wait_loadcnt 0x2
	v_mul_f64_e32 v[38:39], v[8:9], v[26:27]
	;; [unrolled: 2-line block ×4, first 2 shown]
	v_mul_f64_e32 v[22:23], v[18:19], v[22:23]
	v_mul_f64_e32 v[34:35], v[14:15], v[34:35]
	;; [unrolled: 1-line block ×4, first 2 shown]
	v_fma_f64 v[18:19], v[18:19], v[20:21], -v[36:37]
	v_fma_f64 v[10:11], v[10:11], v[24:25], -v[38:39]
	;; [unrolled: 1-line block ×4, first 2 shown]
	v_fma_f64 v[16:17], v[16:17], v[20:21], v[22:23]
	v_fma_f64 v[12:13], v[12:13], v[32:33], v[34:35]
	;; [unrolled: 1-line block ×4, first 2 shown]
	v_add_f64_e32 v[32:33], v[6:7], v[10:11]
	v_add_f64_e32 v[20:21], v[10:11], v[2:3]
	;; [unrolled: 1-line block ×3, first 2 shown]
	v_add_f64_e64 v[36:37], v[10:11], -v[2:3]
	v_add_f64_e32 v[24:25], v[16:17], v[12:13]
	v_add_f64_e32 v[34:35], v[4:5], v[8:9]
	;; [unrolled: 1-line block ×3, first 2 shown]
	v_add_f64_e64 v[28:29], v[16:17], -v[12:13]
	v_add_f64_e64 v[30:31], v[8:9], -v[0:1]
	;; [unrolled: 1-line block ×8, first 2 shown]
	v_fma_f64 v[20:21], v[20:21], -0.5, v[6:7]
	v_fma_f64 v[6:7], v[22:23], -0.5, v[6:7]
	v_add_f64_e64 v[22:23], v[18:19], -v[14:15]
	v_fma_f64 v[24:25], v[24:25], -0.5, v[4:5]
	v_add_f64_e32 v[16:17], v[34:35], v[16:17]
	v_fma_f64 v[4:5], v[26:27], -0.5, v[4:5]
	v_add_f64_e64 v[26:27], v[18:19], -v[10:11]
	v_add_f64_e64 v[10:11], v[10:11], -v[18:19]
	v_add_f64_e32 v[18:19], v[32:33], v[18:19]
	v_fma_f64 v[32:33], v[28:29], s[10:11], v[20:21]
	v_fma_f64 v[20:21], v[28:29], s[4:5], v[20:21]
	;; [unrolled: 1-line block ×8, first 2 shown]
	v_add_f64_e32 v[26:27], v[26:27], v[38:39]
	v_add_f64_e32 v[38:39], v[10:11], v[40:41]
	;; [unrolled: 1-line block ×6, first 2 shown]
	v_fma_f64 v[12:13], v[30:31], s[14:15], v[32:33]
	v_fma_f64 v[14:15], v[30:31], s[12:13], v[20:21]
	;; [unrolled: 1-line block ×8, first 2 shown]
	v_add_f64_e32 v[2:3], v[8:9], v[2:3]
	v_add_f64_e32 v[0:1], v[10:11], v[0:1]
	v_fma_f64 v[6:7], v[26:27], s[16:17], v[12:13]
	v_fma_f64 v[10:11], v[26:27], s[16:17], v[14:15]
	;; [unrolled: 1-line block ×8, first 2 shown]
	v_and_b32_e32 v20, 0xffff, v52
	v_lshlrev_b32_e32 v21, 4, v53
	s_delay_alu instid0(VALU_DEP_2) | instskip(NEXT) | instid1(VALU_DEP_1)
	v_mad_u32_u24 v20, 0xaa0, v20, 0
	v_add3_u32 v20, v20, v21, v176
	ds_store_b128 v20, v[0:3]
	ds_store_b128 v20, v[16:19] offset:544
	ds_store_b128 v20, v[8:11] offset:1088
	;; [unrolled: 1-line block ×4, first 2 shown]
.LBB0_24:
	s_wait_alu 0xfffe
	s_or_b32 exec_lo, exec_lo, s1
	v_mul_u32_u24_e32 v0, 6, v74
	global_wb scope:SCOPE_SE
	s_wait_dscnt 0x0
	s_barrier_signal -1
	s_barrier_wait -1
	global_inv scope:SCOPE_SE
	v_lshlrev_b32_e32 v44, 4, v0
	s_mov_b32 s0, 0x37e14327
	s_mov_b32 s4, 0x36b3c0b5
	;; [unrolled: 1-line block ×4, first 2 shown]
	s_clause 0xb
	global_load_b128 v[0:3], v44, s[8:9] offset:2448
	global_load_b128 v[4:7], v44, s[8:9] offset:2464
	;; [unrolled: 1-line block ×12, first 2 shown]
	ds_load_b128 v[48:51], v75 offset:2720
	ds_load_b128 v[52:55], v75 offset:5440
	ds_load_b128 v[56:59], v75 offset:16320
	ds_load_b128 v[60:63], v75 offset:13600
	ds_load_b128 v[64:67], v75 offset:4080
	ds_load_b128 v[68:71], v75 offset:6800
	ds_load_b128 v[78:81], v75 offset:17680
	ds_load_b128 v[82:85], v75 offset:14960
	ds_load_b128 v[86:89], v75 offset:10880
	ds_load_b128 v[90:93], v75 offset:8160
	ds_load_b128 v[94:97], v75 offset:9520
	ds_load_b128 v[98:101], v75 offset:12240
	s_mov_b32 s8, 0xe976ee23
	s_mov_b32 s9, 0x3fe11646
	;; [unrolled: 1-line block ×9, first 2 shown]
	s_wait_alu 0xfffe
	s_mov_b32 s16, s14
	s_wait_loadcnt_dscnt 0xb0b
	v_mul_f64_e32 v[102:103], v[50:51], v[2:3]
	v_mul_f64_e32 v[2:3], v[48:49], v[2:3]
	s_wait_loadcnt_dscnt 0xa0a
	v_mul_f64_e32 v[104:105], v[54:55], v[6:7]
	v_mul_f64_e32 v[6:7], v[52:53], v[6:7]
	s_wait_loadcnt_dscnt 0x909
	v_mul_f64_e32 v[106:107], v[58:59], v[10:11]
	v_mul_f64_e32 v[10:11], v[56:57], v[10:11]
	s_wait_loadcnt_dscnt 0x808
	v_mul_f64_e32 v[108:109], v[62:63], v[14:15]
	v_mul_f64_e32 v[14:15], v[60:61], v[14:15]
	s_wait_loadcnt_dscnt 0x707
	v_mul_f64_e32 v[110:111], v[66:67], v[18:19]
	v_mul_f64_e32 v[18:19], v[64:65], v[18:19]
	s_wait_loadcnt_dscnt 0x606
	v_mul_f64_e32 v[112:113], v[70:71], v[22:23]
	v_mul_f64_e32 v[22:23], v[68:69], v[22:23]
	s_wait_loadcnt_dscnt 0x505
	v_mul_f64_e32 v[114:115], v[80:81], v[26:27]
	v_mul_f64_e32 v[26:27], v[78:79], v[26:27]
	s_wait_loadcnt_dscnt 0x404
	v_mul_f64_e32 v[116:117], v[84:85], v[30:31]
	v_mul_f64_e32 v[30:31], v[82:83], v[30:31]
	s_wait_loadcnt_dscnt 0x302
	v_mul_f64_e32 v[118:119], v[92:93], v[34:35]
	v_mul_f64_e32 v[34:35], v[90:91], v[34:35]
	s_wait_loadcnt 0x2
	v_mul_f64_e32 v[120:121], v[88:89], v[38:39]
	v_mul_f64_e32 v[38:39], v[86:87], v[38:39]
	v_fma_f64 v[48:49], v[48:49], v[0:1], v[102:103]
	v_fma_f64 v[0:1], v[50:51], v[0:1], -v[2:3]
	v_fma_f64 v[2:3], v[52:53], v[4:5], v[104:105]
	v_fma_f64 v[4:5], v[54:55], v[4:5], -v[6:7]
	;; [unrolled: 2-line block ×4, first 2 shown]
	s_wait_loadcnt_dscnt 0x101
	v_mul_f64_e32 v[14:15], v[96:97], v[42:43]
	v_mul_f64_e32 v[42:43], v[94:95], v[42:43]
	s_wait_loadcnt_dscnt 0x0
	v_mul_f64_e32 v[50:51], v[100:101], v[46:47]
	v_mul_f64_e32 v[46:47], v[98:99], v[46:47]
	v_fma_f64 v[52:53], v[64:65], v[16:17], v[110:111]
	v_fma_f64 v[16:17], v[66:67], v[16:17], -v[18:19]
	v_fma_f64 v[18:19], v[68:69], v[20:21], v[112:113]
	v_fma_f64 v[20:21], v[70:71], v[20:21], -v[22:23]
	;; [unrolled: 2-line block ×6, first 2 shown]
	v_add_f64_e32 v[38:39], v[48:49], v[6:7]
	v_add_f64_e32 v[54:55], v[0:1], v[8:9]
	v_add_f64_e32 v[56:57], v[2:3], v[10:11]
	v_add_f64_e32 v[58:59], v[4:5], v[12:13]
	v_fma_f64 v[14:15], v[94:95], v[40:41], v[14:15]
	v_fma_f64 v[40:41], v[96:97], v[40:41], -v[42:43]
	v_fma_f64 v[42:43], v[98:99], v[44:45], v[50:51]
	v_fma_f64 v[44:45], v[100:101], v[44:45], -v[46:47]
	v_add_f64_e64 v[10:11], v[2:3], -v[10:11]
	v_add_f64_e64 v[12:13], v[4:5], -v[12:13]
	;; [unrolled: 1-line block ×3, first 2 shown]
	v_add_f64_e32 v[46:47], v[52:53], v[22:23]
	v_add_f64_e32 v[50:51], v[16:17], v[24:25]
	;; [unrolled: 1-line block ×4, first 2 shown]
	v_add_f64_e64 v[18:19], v[18:19], -v[26:27]
	v_add_f64_e64 v[20:21], v[20:21], -v[28:29]
	v_add_f64_e32 v[64:65], v[30:31], v[34:35]
	v_add_f64_e32 v[66:67], v[32:33], v[36:37]
	v_add_f64_e64 v[30:31], v[34:35], -v[30:31]
	v_add_f64_e64 v[32:33], v[36:37], -v[32:33]
	;; [unrolled: 1-line block ×5, first 2 shown]
	ds_load_b128 v[0:3], v175
	ds_load_b128 v[4:7], v75 offset:1360
	global_wb scope:SCOPE_SE
	s_wait_dscnt 0x0
	s_barrier_signal -1
	s_barrier_wait -1
	global_inv scope:SCOPE_SE
	v_add_f64_e32 v[36:37], v[56:57], v[38:39]
	v_add_f64_e32 v[48:49], v[58:59], v[54:55]
	;; [unrolled: 1-line block ×4, first 2 shown]
	v_add_f64_e64 v[14:15], v[42:43], -v[14:15]
	v_add_f64_e64 v[40:41], v[44:45], -v[40:41]
	;; [unrolled: 1-line block ×3, first 2 shown]
	v_add_f64_e32 v[24:25], v[60:61], v[46:47]
	v_add_f64_e32 v[42:43], v[62:63], v[50:51]
	v_add_f64_e64 v[44:45], v[38:39], -v[64:65]
	v_add_f64_e64 v[52:53], v[54:55], -v[66:67]
	;; [unrolled: 1-line block ×11, first 2 shown]
	v_add_f64_e32 v[10:11], v[30:31], v[10:11]
	v_add_f64_e32 v[12:13], v[32:33], v[12:13]
	v_add_f64_e64 v[30:31], v[34:35], -v[30:31]
	v_add_f64_e64 v[32:33], v[8:9], -v[32:33]
	v_add_f64_e32 v[36:37], v[64:65], v[36:37]
	v_add_f64_e32 v[48:49], v[66:67], v[48:49]
	v_add_f64_e64 v[64:65], v[46:47], -v[26:27]
	v_add_f64_e64 v[66:67], v[50:51], -v[28:29]
	;; [unrolled: 1-line block ×4, first 2 shown]
	v_add_f64_e32 v[18:19], v[14:15], v[18:19]
	v_add_f64_e32 v[20:21], v[40:41], v[20:21]
	v_mul_f64_e32 v[96:97], s[10:11], v[84:85]
	v_add_f64_e64 v[14:15], v[22:23], -v[14:15]
	v_add_f64_e32 v[24:25], v[26:27], v[24:25]
	v_add_f64_e32 v[42:43], v[28:29], v[42:43]
	v_add_f64_e64 v[26:27], v[26:27], -v[60:61]
	v_add_f64_e64 v[28:29], v[28:29], -v[62:63]
	v_mul_f64_e32 v[44:45], s[0:1], v[44:45]
	v_mul_f64_e32 v[52:53], s[0:1], v[52:53]
	;; [unrolled: 1-line block ×6, first 2 shown]
	v_add_f64_e64 v[40:41], v[16:17], -v[40:41]
	v_mul_f64_e32 v[94:95], s[10:11], v[82:83]
	v_mul_f64_e32 v[98:99], s[10:11], v[90:91]
	;; [unrolled: 1-line block ×3, first 2 shown]
	v_add_f64_e64 v[46:47], v[60:61], -v[46:47]
	v_add_f64_e64 v[50:51], v[62:63], -v[50:51]
	v_add_f64_e32 v[10:11], v[10:11], v[34:35]
	v_add_f64_e32 v[8:9], v[12:13], v[8:9]
	;; [unrolled: 1-line block ×4, first 2 shown]
	v_mul_f64_e32 v[64:65], s[0:1], v[64:65]
	v_mul_f64_e32 v[66:67], s[0:1], v[66:67]
	;; [unrolled: 1-line block ×4, first 2 shown]
	s_mov_b32 s0, 0x5476071b
	s_mov_b32 s1, 0x3fe77f67
	;; [unrolled: 1-line block ×3, first 2 shown]
	s_wait_alu 0xfffe
	s_mov_b32 s8, s0
	v_add_f64_e32 v[4:5], v[4:5], v[24:25]
	v_add_f64_e32 v[6:7], v[6:7], v[42:43]
	v_mul_f64_e32 v[60:61], s[4:5], v[26:27]
	v_mul_f64_e32 v[62:63], s[4:5], v[28:29]
	v_add_f64_e32 v[12:13], v[18:19], v[22:23]
	v_add_f64_e32 v[16:17], v[20:21], v[16:17]
	v_fma_f64 v[18:19], v[68:69], s[4:5], v[44:45]
	v_fma_f64 v[20:21], v[70:71], s[4:5], v[52:53]
	v_fma_f64 v[22:23], v[38:39], s[0:1], -v[56:57]
	v_fma_f64 v[34:35], v[54:55], s[0:1], -v[58:59]
	v_fma_f64 v[56:57], v[30:31], s[14:15], v[78:79]
	v_fma_f64 v[58:59], v[32:33], s[14:15], v[80:81]
	v_fma_f64 v[68:69], v[82:83], s[10:11], -v[78:79]
	v_fma_f64 v[70:71], v[84:85], s[10:11], -v[80:81]
	;; [unrolled: 1-line block ×3, first 2 shown]
	s_wait_alu 0xfffe
	v_fma_f64 v[38:39], v[38:39], s[8:9], -v[44:45]
	v_fma_f64 v[44:45], v[54:55], s[8:9], -v[52:53]
	;; [unrolled: 1-line block ×3, first 2 shown]
	v_fma_f64 v[36:37], v[36:37], s[12:13], v[0:1]
	v_fma_f64 v[48:49], v[48:49], s[12:13], v[2:3]
	;; [unrolled: 1-line block ×6, first 2 shown]
	v_fma_f64 v[78:79], v[90:91], s[10:11], -v[86:87]
	v_fma_f64 v[80:81], v[92:93], s[10:11], -v[88:89]
	;; [unrolled: 1-line block ×4, first 2 shown]
	v_fma_f64 v[24:25], v[24:25], s[12:13], v[4:5]
	v_fma_f64 v[42:43], v[42:43], s[12:13], v[6:7]
	v_fma_f64 v[64:65], v[46:47], s[8:9], -v[64:65]
	v_fma_f64 v[66:67], v[50:51], s[8:9], -v[66:67]
	;; [unrolled: 1-line block ×4, first 2 shown]
	s_mov_b32 s0, 0x37c3f68c
	s_mov_b32 s1, 0xbfdc38aa
	s_wait_alu 0xfffe
	v_fma_f64 v[56:57], v[10:11], s[0:1], v[56:57]
	v_fma_f64 v[58:59], v[8:9], s[0:1], v[58:59]
	;; [unrolled: 1-line block ×6, first 2 shown]
	v_add_f64_e32 v[68:69], v[18:19], v[36:37]
	v_add_f64_e32 v[70:71], v[20:21], v[48:49]
	;; [unrolled: 1-line block ×6, first 2 shown]
	v_fma_f64 v[82:83], v[12:13], s[0:1], v[52:53]
	v_fma_f64 v[52:53], v[16:17], s[0:1], v[54:55]
	;; [unrolled: 1-line block ×6, first 2 shown]
	v_add_f64_e32 v[84:85], v[26:27], v[24:25]
	v_add_f64_e32 v[86:87], v[28:29], v[42:43]
	;; [unrolled: 1-line block ×7, first 2 shown]
	v_add_f64_e64 v[10:11], v[70:71], -v[56:57]
	v_add_f64_e32 v[12:13], v[32:33], v[38:39]
	v_add_f64_e64 v[24:25], v[38:39], -v[32:33]
	v_add_f64_e64 v[14:15], v[44:45], -v[30:31]
	;; [unrolled: 1-line block ×3, first 2 shown]
	v_add_f64_e32 v[18:19], v[60:61], v[22:23]
	v_add_f64_e32 v[20:21], v[62:63], v[20:21]
	v_add_f64_e64 v[22:23], v[22:23], -v[60:61]
	v_add_f64_e32 v[26:27], v[30:31], v[44:45]
	v_add_f64_e64 v[28:29], v[68:69], -v[58:59]
	v_add_f64_e32 v[30:31], v[56:57], v[70:71]
	v_add_f64_e32 v[32:33], v[52:53], v[84:85]
	v_add_f64_e64 v[34:35], v[86:87], -v[82:83]
	v_add_f64_e32 v[36:37], v[80:81], v[64:65]
	v_add_f64_e64 v[38:39], v[66:67], -v[78:79]
	v_add_f64_e64 v[40:41], v[46:47], -v[54:55]
	v_add_f64_e32 v[42:43], v[48:49], v[50:51]
	v_add_f64_e32 v[44:45], v[54:55], v[46:47]
	v_add_f64_e64 v[46:47], v[50:51], -v[48:49]
	v_add_f64_e64 v[48:49], v[64:65], -v[80:81]
	v_add_f64_e32 v[50:51], v[78:79], v[66:67]
	v_add_f64_e64 v[52:53], v[84:85], -v[52:53]
	v_add_f64_e32 v[54:55], v[82:83], v[86:87]
	ds_store_b128 v75, v[0:3]
	ds_store_b128 v75, v[4:7] offset:1360
	ds_store_b128 v75, v[8:11] offset:2720
	ds_store_b128 v75, v[32:35] offset:4080
	ds_store_b128 v75, v[12:15] offset:5440
	ds_store_b128 v75, v[36:39] offset:6800
	ds_store_b128 v75, v[16:19] offset:8160
	ds_store_b128 v75, v[40:43] offset:9520
	ds_store_b128 v75, v[20:23] offset:10880
	ds_store_b128 v75, v[44:47] offset:12240
	ds_store_b128 v75, v[24:27] offset:13600
	ds_store_b128 v75, v[48:51] offset:14960
	ds_store_b128 v75, v[28:31] offset:16320
	ds_store_b128 v75, v[52:55] offset:17680
	global_wb scope:SCOPE_SE
	s_wait_dscnt 0x0
	s_barrier_signal -1
	s_barrier_wait -1
	global_inv scope:SCOPE_SE
	s_and_saveexec_b32 s0, vcc_lo
	s_cbranch_execz .LBB0_26
; %bb.25:
	v_mul_lo_u32 v2, s3, v76
	v_mul_lo_u32 v3, s2, v77
	v_mad_co_u64_u32 v[0:1], null, s2, v76, 0
	v_dual_mov_b32 v75, 0 :: v_dual_add_nc_u32 v10, 0x55, v74
	v_lshlrev_b64_e32 v[8:9], 4, v[72:73]
	v_lshl_add_u32 v34, v74, 4, v174
	s_delay_alu instid0(VALU_DEP_3) | instskip(SKIP_4) | instid1(VALU_DEP_4)
	v_dual_mov_b32 v11, v75 :: v_dual_add_nc_u32 v12, 0xaa, v74
	v_add3_u32 v1, v1, v3, v2
	v_lshlrev_b64_e32 v[14:15], 4, v[74:75]
	v_dual_mov_b32 v13, v75 :: v_dual_add_nc_u32 v22, 0xff, v74
	v_dual_mov_b32 v23, v75 :: v_dual_add_nc_u32 v24, 0x154, v74
	v_lshlrev_b64_e32 v[16:17], 4, v[0:1]
	ds_load_b128 v[0:3], v34
	ds_load_b128 v[4:7], v34 offset:1360
	v_mov_b32_e32 v25, v75
	v_lshlrev_b64_e32 v[22:23], 4, v[22:23]
	v_add_co_u32 v18, vcc_lo, s6, v16
	s_wait_alu 0xfffd
	v_add_co_ci_u32_e32 v19, vcc_lo, s7, v17, vcc_lo
	v_lshlrev_b64_e32 v[16:17], 4, v[10:11]
	s_delay_alu instid0(VALU_DEP_3) | instskip(SKIP_1) | instid1(VALU_DEP_3)
	v_add_co_u32 v36, vcc_lo, v18, v8
	s_wait_alu 0xfffd
	v_add_co_ci_u32_e32 v37, vcc_lo, v19, v9, vcc_lo
	v_lshlrev_b64_e32 v[18:19], 4, v[12:13]
	s_delay_alu instid0(VALU_DEP_3) | instskip(SKIP_1) | instid1(VALU_DEP_3)
	v_add_co_u32 v20, vcc_lo, v36, v14
	s_wait_alu 0xfffd
	v_add_co_ci_u32_e32 v21, vcc_lo, v37, v15, vcc_lo
	ds_load_b128 v[8:11], v34 offset:2720
	ds_load_b128 v[12:15], v34 offset:4080
	v_add_co_u32 v16, vcc_lo, v36, v16
	s_wait_alu 0xfffd
	v_add_co_ci_u32_e32 v17, vcc_lo, v37, v17, vcc_lo
	v_add_co_u32 v18, vcc_lo, v36, v18
	s_wait_alu 0xfffd
	v_add_co_ci_u32_e32 v19, vcc_lo, v37, v19, vcc_lo
	;; [unrolled: 3-line block ×3, first 2 shown]
	s_wait_dscnt 0x3
	global_store_b128 v[20:21], v[0:3], off
	s_wait_dscnt 0x2
	global_store_b128 v[16:17], v[4:7], off
	;; [unrolled: 2-line block ×4, first 2 shown]
	v_add_nc_u32_e32 v8, 0x1a9, v74
	v_lshlrev_b64_e32 v[0:1], 4, v[24:25]
	v_dual_mov_b32 v9, v75 :: v_dual_add_nc_u32 v10, 0x1fe, v74
	v_dual_mov_b32 v11, v75 :: v_dual_add_nc_u32 v22, 0x253, v74
	;; [unrolled: 1-line block ×3, first 2 shown]
	s_delay_alu instid0(VALU_DEP_4)
	v_add_co_u32 v16, vcc_lo, v36, v0
	s_wait_alu 0xfffd
	v_add_co_ci_u32_e32 v17, vcc_lo, v37, v1, vcc_lo
	ds_load_b128 v[0:3], v34 offset:5440
	ds_load_b128 v[4:7], v34 offset:6800
	v_lshlrev_b64_e32 v[18:19], 4, v[8:9]
	v_lshlrev_b64_e32 v[20:21], 4, v[10:11]
	ds_load_b128 v[8:11], v34 offset:8160
	ds_load_b128 v[12:15], v34 offset:9520
	v_lshlrev_b64_e32 v[22:23], 4, v[22:23]
	v_add_co_u32 v18, vcc_lo, v36, v18
	s_wait_alu 0xfffd
	v_add_co_ci_u32_e32 v19, vcc_lo, v37, v19, vcc_lo
	v_add_co_u32 v20, vcc_lo, v36, v20
	s_wait_alu 0xfffd
	v_add_co_ci_u32_e32 v21, vcc_lo, v37, v21, vcc_lo
	v_add_co_u32 v22, vcc_lo, v36, v22
	s_wait_dscnt 0x3
	global_store_b128 v[16:17], v[0:3], off
	s_wait_dscnt 0x2
	global_store_b128 v[18:19], v[4:7], off
	v_dual_mov_b32 v3, v75 :: v_dual_add_nc_u32 v2, 0x2fd, v74
	s_wait_alu 0xfffd
	v_add_co_ci_u32_e32 v23, vcc_lo, v37, v23, vcc_lo
	v_lshlrev_b64_e32 v[0:1], 4, v[24:25]
	s_wait_dscnt 0x1
	global_store_b128 v[20:21], v[8:11], off
	s_wait_dscnt 0x0
	global_store_b128 v[22:23], v[12:15], off
	v_lshlrev_b64_e32 v[8:9], 4, v[2:3]
	v_dual_mov_b32 v11, v75 :: v_dual_add_nc_u32 v10, 0x352, v74
	v_add_co_u32 v24, vcc_lo, v36, v0
	s_wait_alu 0xfffd
	v_add_co_ci_u32_e32 v25, vcc_lo, v37, v1, vcc_lo
	s_delay_alu instid0(VALU_DEP_4)
	v_add_co_u32 v26, vcc_lo, v36, v8
	s_wait_alu 0xfffd
	v_add_co_ci_u32_e32 v27, vcc_lo, v37, v9, vcc_lo
	v_lshlrev_b64_e32 v[8:9], 4, v[10:11]
	v_dual_mov_b32 v17, v75 :: v_dual_add_nc_u32 v16, 0x3a7, v74
	v_dual_mov_b32 v19, v75 :: v_dual_add_nc_u32 v18, 0x3fc, v74
	ds_load_b128 v[0:3], v34 offset:10880
	ds_load_b128 v[4:7], v34 offset:12240
	v_add_co_u32 v28, vcc_lo, v36, v8
	s_wait_alu 0xfffd
	v_add_co_ci_u32_e32 v29, vcc_lo, v37, v9, vcc_lo
	ds_load_b128 v[8:11], v34 offset:13600
	ds_load_b128 v[12:15], v34 offset:14960
	v_lshlrev_b64_e32 v[30:31], 4, v[16:17]
	v_lshlrev_b64_e32 v[32:33], 4, v[18:19]
	ds_load_b128 v[16:19], v34 offset:16320
	ds_load_b128 v[20:23], v34 offset:17680
	v_add_nc_u32_e32 v74, 0x451, v74
	v_add_co_u32 v30, vcc_lo, v36, v30
	s_delay_alu instid0(VALU_DEP_2)
	v_lshlrev_b64_e32 v[34:35], 4, v[74:75]
	s_wait_alu 0xfffd
	v_add_co_ci_u32_e32 v31, vcc_lo, v37, v31, vcc_lo
	v_add_co_u32 v32, vcc_lo, v36, v32
	s_wait_alu 0xfffd
	v_add_co_ci_u32_e32 v33, vcc_lo, v37, v33, vcc_lo
	v_add_co_u32 v34, vcc_lo, v36, v34
	s_wait_alu 0xfffd
	v_add_co_ci_u32_e32 v35, vcc_lo, v37, v35, vcc_lo
	s_wait_dscnt 0x5
	global_store_b128 v[24:25], v[0:3], off
	s_wait_dscnt 0x4
	global_store_b128 v[26:27], v[4:7], off
	;; [unrolled: 2-line block ×6, first 2 shown]
.LBB0_26:
	s_nop 0
	s_sendmsg sendmsg(MSG_DEALLOC_VGPRS)
	s_endpgm
	.section	.rodata,"a",@progbits
	.p2align	6, 0x0
	.amdhsa_kernel fft_rtc_back_len1190_factors_17_2_5_7_wgs_255_tpt_85_halfLds_dp_op_CI_CI_unitstride_sbrr_C2R_dirReg
		.amdhsa_group_segment_fixed_size 0
		.amdhsa_private_segment_fixed_size 0
		.amdhsa_kernarg_size 104
		.amdhsa_user_sgpr_count 2
		.amdhsa_user_sgpr_dispatch_ptr 0
		.amdhsa_user_sgpr_queue_ptr 0
		.amdhsa_user_sgpr_kernarg_segment_ptr 1
		.amdhsa_user_sgpr_dispatch_id 0
		.amdhsa_user_sgpr_private_segment_size 0
		.amdhsa_wavefront_size32 1
		.amdhsa_uses_dynamic_stack 0
		.amdhsa_enable_private_segment 0
		.amdhsa_system_sgpr_workgroup_id_x 1
		.amdhsa_system_sgpr_workgroup_id_y 0
		.amdhsa_system_sgpr_workgroup_id_z 0
		.amdhsa_system_sgpr_workgroup_info 0
		.amdhsa_system_vgpr_workitem_id 0
		.amdhsa_next_free_vgpr 225
		.amdhsa_next_free_sgpr 50
		.amdhsa_reserve_vcc 1
		.amdhsa_float_round_mode_32 0
		.amdhsa_float_round_mode_16_64 0
		.amdhsa_float_denorm_mode_32 3
		.amdhsa_float_denorm_mode_16_64 3
		.amdhsa_fp16_overflow 0
		.amdhsa_workgroup_processor_mode 1
		.amdhsa_memory_ordered 1
		.amdhsa_forward_progress 0
		.amdhsa_round_robin_scheduling 0
		.amdhsa_exception_fp_ieee_invalid_op 0
		.amdhsa_exception_fp_denorm_src 0
		.amdhsa_exception_fp_ieee_div_zero 0
		.amdhsa_exception_fp_ieee_overflow 0
		.amdhsa_exception_fp_ieee_underflow 0
		.amdhsa_exception_fp_ieee_inexact 0
		.amdhsa_exception_int_div_zero 0
	.end_amdhsa_kernel
	.text
.Lfunc_end0:
	.size	fft_rtc_back_len1190_factors_17_2_5_7_wgs_255_tpt_85_halfLds_dp_op_CI_CI_unitstride_sbrr_C2R_dirReg, .Lfunc_end0-fft_rtc_back_len1190_factors_17_2_5_7_wgs_255_tpt_85_halfLds_dp_op_CI_CI_unitstride_sbrr_C2R_dirReg
                                        ; -- End function
	.section	.AMDGPU.csdata,"",@progbits
; Kernel info:
; codeLenInByte = 15100
; NumSgprs: 52
; NumVgprs: 225
; ScratchSize: 0
; MemoryBound: 0
; FloatMode: 240
; IeeeMode: 1
; LDSByteSize: 0 bytes/workgroup (compile time only)
; SGPRBlocks: 6
; VGPRBlocks: 28
; NumSGPRsForWavesPerEU: 52
; NumVGPRsForWavesPerEU: 225
; Occupancy: 6
; WaveLimiterHint : 1
; COMPUTE_PGM_RSRC2:SCRATCH_EN: 0
; COMPUTE_PGM_RSRC2:USER_SGPR: 2
; COMPUTE_PGM_RSRC2:TRAP_HANDLER: 0
; COMPUTE_PGM_RSRC2:TGID_X_EN: 1
; COMPUTE_PGM_RSRC2:TGID_Y_EN: 0
; COMPUTE_PGM_RSRC2:TGID_Z_EN: 0
; COMPUTE_PGM_RSRC2:TIDIG_COMP_CNT: 0
	.text
	.p2alignl 7, 3214868480
	.fill 96, 4, 3214868480
	.type	__hip_cuid_86cb585544ec9ddc,@object ; @__hip_cuid_86cb585544ec9ddc
	.section	.bss,"aw",@nobits
	.globl	__hip_cuid_86cb585544ec9ddc
__hip_cuid_86cb585544ec9ddc:
	.byte	0                               ; 0x0
	.size	__hip_cuid_86cb585544ec9ddc, 1

	.ident	"AMD clang version 19.0.0git (https://github.com/RadeonOpenCompute/llvm-project roc-6.4.0 25133 c7fe45cf4b819c5991fe208aaa96edf142730f1d)"
	.section	".note.GNU-stack","",@progbits
	.addrsig
	.addrsig_sym __hip_cuid_86cb585544ec9ddc
	.amdgpu_metadata
---
amdhsa.kernels:
  - .args:
      - .actual_access:  read_only
        .address_space:  global
        .offset:         0
        .size:           8
        .value_kind:     global_buffer
      - .offset:         8
        .size:           8
        .value_kind:     by_value
      - .actual_access:  read_only
        .address_space:  global
        .offset:         16
        .size:           8
        .value_kind:     global_buffer
      - .actual_access:  read_only
        .address_space:  global
        .offset:         24
        .size:           8
        .value_kind:     global_buffer
      - .actual_access:  read_only
        .address_space:  global
        .offset:         32
        .size:           8
        .value_kind:     global_buffer
      - .offset:         40
        .size:           8
        .value_kind:     by_value
      - .actual_access:  read_only
        .address_space:  global
        .offset:         48
        .size:           8
        .value_kind:     global_buffer
      - .actual_access:  read_only
        .address_space:  global
        .offset:         56
        .size:           8
        .value_kind:     global_buffer
      - .offset:         64
        .size:           4
        .value_kind:     by_value
      - .actual_access:  read_only
        .address_space:  global
        .offset:         72
        .size:           8
        .value_kind:     global_buffer
      - .actual_access:  read_only
        .address_space:  global
        .offset:         80
        .size:           8
        .value_kind:     global_buffer
      - .actual_access:  read_only
        .address_space:  global
        .offset:         88
        .size:           8
        .value_kind:     global_buffer
      - .actual_access:  write_only
        .address_space:  global
        .offset:         96
        .size:           8
        .value_kind:     global_buffer
    .group_segment_fixed_size: 0
    .kernarg_segment_align: 8
    .kernarg_segment_size: 104
    .language:       OpenCL C
    .language_version:
      - 2
      - 0
    .max_flat_workgroup_size: 255
    .name:           fft_rtc_back_len1190_factors_17_2_5_7_wgs_255_tpt_85_halfLds_dp_op_CI_CI_unitstride_sbrr_C2R_dirReg
    .private_segment_fixed_size: 0
    .sgpr_count:     52
    .sgpr_spill_count: 0
    .symbol:         fft_rtc_back_len1190_factors_17_2_5_7_wgs_255_tpt_85_halfLds_dp_op_CI_CI_unitstride_sbrr_C2R_dirReg.kd
    .uniform_work_group_size: 1
    .uses_dynamic_stack: false
    .vgpr_count:     225
    .vgpr_spill_count: 0
    .wavefront_size: 32
    .workgroup_processor_mode: 1
amdhsa.target:   amdgcn-amd-amdhsa--gfx1201
amdhsa.version:
  - 1
  - 2
...

	.end_amdgpu_metadata
